;; amdgpu-corpus repo=ROCm/rocFFT kind=compiled arch=gfx1030 opt=O3
	.text
	.amdgcn_target "amdgcn-amd-amdhsa--gfx1030"
	.amdhsa_code_object_version 6
	.protected	fft_rtc_fwd_len1575_factors_3_3_5_7_5_wgs_63_tpt_63_halfLds_dp_ip_CI_sbrr_dirReg ; -- Begin function fft_rtc_fwd_len1575_factors_3_3_5_7_5_wgs_63_tpt_63_halfLds_dp_ip_CI_sbrr_dirReg
	.globl	fft_rtc_fwd_len1575_factors_3_3_5_7_5_wgs_63_tpt_63_halfLds_dp_ip_CI_sbrr_dirReg
	.p2align	8
	.type	fft_rtc_fwd_len1575_factors_3_3_5_7_5_wgs_63_tpt_63_halfLds_dp_ip_CI_sbrr_dirReg,@function
fft_rtc_fwd_len1575_factors_3_3_5_7_5_wgs_63_tpt_63_halfLds_dp_ip_CI_sbrr_dirReg: ; @fft_rtc_fwd_len1575_factors_3_3_5_7_5_wgs_63_tpt_63_halfLds_dp_ip_CI_sbrr_dirReg
; %bb.0:
	s_clause 0x2
	s_load_dwordx2 s[14:15], s[4:5], 0x18
	s_load_dwordx4 s[8:11], s[4:5], 0x0
	s_load_dwordx2 s[12:13], s[4:5], 0x50
	s_mov_b64 s[30:31], s[2:3]
	s_mov_b64 s[28:29], s[0:1]
	v_mul_u32_u24_e32 v1, 0x411, v0
	v_mov_b32_e32 v3, 0
	s_add_u32 s28, s28, s7
	s_addc_u32 s29, s29, 0
	v_add_nc_u32_sdwa v5, s6, v1 dst_sel:DWORD dst_unused:UNUSED_PAD src0_sel:DWORD src1_sel:WORD_1
	v_mov_b32_e32 v1, 0
	v_mov_b32_e32 v6, v3
	;; [unrolled: 1-line block ×3, first 2 shown]
	s_waitcnt lgkmcnt(0)
	s_load_dwordx2 s[2:3], s[14:15], 0x0
	v_cmp_lt_u64_e64 s0, s[10:11], 2
	s_and_b32 vcc_lo, exec_lo, s0
	s_cbranch_vccnz .LBB0_8
; %bb.1:
	s_load_dwordx2 s[0:1], s[4:5], 0x10
	v_mov_b32_e32 v1, 0
	s_add_u32 s6, s14, 8
	v_mov_b32_e32 v2, 0
	s_addc_u32 s7, s15, 0
	s_mov_b64 s[18:19], 1
	s_waitcnt lgkmcnt(0)
	s_add_u32 s16, s0, 8
	s_addc_u32 s17, s1, 0
.LBB0_2:                                ; =>This Inner Loop Header: Depth=1
	s_load_dwordx2 s[20:21], s[16:17], 0x0
                                        ; implicit-def: $vgpr7_vgpr8
	s_mov_b32 s0, exec_lo
	s_waitcnt lgkmcnt(0)
	v_or_b32_e32 v4, s21, v6
	v_cmpx_ne_u64_e32 0, v[3:4]
	s_xor_b32 s1, exec_lo, s0
	s_cbranch_execz .LBB0_4
; %bb.3:                                ;   in Loop: Header=BB0_2 Depth=1
	v_cvt_f32_u32_e32 v4, s20
	v_cvt_f32_u32_e32 v7, s21
	s_sub_u32 s0, 0, s20
	s_subb_u32 s22, 0, s21
	v_fmac_f32_e32 v4, 0x4f800000, v7
	v_rcp_f32_e32 v4, v4
	v_mul_f32_e32 v4, 0x5f7ffffc, v4
	v_mul_f32_e32 v7, 0x2f800000, v4
	v_trunc_f32_e32 v7, v7
	v_fmac_f32_e32 v4, 0xcf800000, v7
	v_cvt_u32_f32_e32 v7, v7
	v_cvt_u32_f32_e32 v4, v4
	v_mul_lo_u32 v8, s0, v7
	v_mul_hi_u32 v9, s0, v4
	v_mul_lo_u32 v10, s22, v4
	v_add_nc_u32_e32 v8, v9, v8
	v_mul_lo_u32 v9, s0, v4
	v_add_nc_u32_e32 v8, v8, v10
	v_mul_hi_u32 v10, v4, v9
	v_mul_lo_u32 v11, v4, v8
	v_mul_hi_u32 v12, v4, v8
	v_mul_hi_u32 v13, v7, v9
	v_mul_lo_u32 v9, v7, v9
	v_mul_hi_u32 v14, v7, v8
	v_mul_lo_u32 v8, v7, v8
	v_add_co_u32 v10, vcc_lo, v10, v11
	v_add_co_ci_u32_e32 v11, vcc_lo, 0, v12, vcc_lo
	v_add_co_u32 v9, vcc_lo, v10, v9
	v_add_co_ci_u32_e32 v9, vcc_lo, v11, v13, vcc_lo
	v_add_co_ci_u32_e32 v10, vcc_lo, 0, v14, vcc_lo
	v_add_co_u32 v8, vcc_lo, v9, v8
	v_add_co_ci_u32_e32 v9, vcc_lo, 0, v10, vcc_lo
	v_add_co_u32 v4, vcc_lo, v4, v8
	v_add_co_ci_u32_e32 v7, vcc_lo, v7, v9, vcc_lo
	v_mul_hi_u32 v8, s0, v4
	v_mul_lo_u32 v10, s22, v4
	v_mul_lo_u32 v9, s0, v7
	v_add_nc_u32_e32 v8, v8, v9
	v_mul_lo_u32 v9, s0, v4
	v_add_nc_u32_e32 v8, v8, v10
	v_mul_hi_u32 v10, v4, v9
	v_mul_lo_u32 v11, v4, v8
	v_mul_hi_u32 v12, v4, v8
	v_mul_hi_u32 v13, v7, v9
	v_mul_lo_u32 v9, v7, v9
	v_mul_hi_u32 v14, v7, v8
	v_mul_lo_u32 v8, v7, v8
	v_add_co_u32 v10, vcc_lo, v10, v11
	v_add_co_ci_u32_e32 v11, vcc_lo, 0, v12, vcc_lo
	v_add_co_u32 v9, vcc_lo, v10, v9
	v_add_co_ci_u32_e32 v9, vcc_lo, v11, v13, vcc_lo
	v_add_co_ci_u32_e32 v10, vcc_lo, 0, v14, vcc_lo
	v_add_co_u32 v8, vcc_lo, v9, v8
	v_add_co_ci_u32_e32 v9, vcc_lo, 0, v10, vcc_lo
	v_add_co_u32 v4, vcc_lo, v4, v8
	v_add_co_ci_u32_e32 v11, vcc_lo, v7, v9, vcc_lo
	v_mul_hi_u32 v13, v5, v4
	v_mad_u64_u32 v[9:10], null, v6, v4, 0
	v_mad_u64_u32 v[7:8], null, v5, v11, 0
	v_mad_u64_u32 v[11:12], null, v6, v11, 0
	v_add_co_u32 v4, vcc_lo, v13, v7
	v_add_co_ci_u32_e32 v7, vcc_lo, 0, v8, vcc_lo
	v_add_co_u32 v4, vcc_lo, v4, v9
	v_add_co_ci_u32_e32 v4, vcc_lo, v7, v10, vcc_lo
	v_add_co_ci_u32_e32 v7, vcc_lo, 0, v12, vcc_lo
	v_add_co_u32 v4, vcc_lo, v4, v11
	v_add_co_ci_u32_e32 v9, vcc_lo, 0, v7, vcc_lo
	v_mul_lo_u32 v10, s21, v4
	v_mad_u64_u32 v[7:8], null, s20, v4, 0
	v_mul_lo_u32 v11, s20, v9
	v_sub_co_u32 v7, vcc_lo, v5, v7
	v_add3_u32 v8, v8, v11, v10
	v_sub_nc_u32_e32 v10, v6, v8
	v_subrev_co_ci_u32_e64 v10, s0, s21, v10, vcc_lo
	v_add_co_u32 v11, s0, v4, 2
	v_add_co_ci_u32_e64 v12, s0, 0, v9, s0
	v_sub_co_u32 v13, s0, v7, s20
	v_sub_co_ci_u32_e32 v8, vcc_lo, v6, v8, vcc_lo
	v_subrev_co_ci_u32_e64 v10, s0, 0, v10, s0
	v_cmp_le_u32_e32 vcc_lo, s20, v13
	v_cmp_eq_u32_e64 s0, s21, v8
	v_cndmask_b32_e64 v13, 0, -1, vcc_lo
	v_cmp_le_u32_e32 vcc_lo, s21, v10
	v_cndmask_b32_e64 v14, 0, -1, vcc_lo
	v_cmp_le_u32_e32 vcc_lo, s20, v7
	;; [unrolled: 2-line block ×3, first 2 shown]
	v_cndmask_b32_e64 v15, 0, -1, vcc_lo
	v_cmp_eq_u32_e32 vcc_lo, s21, v10
	v_cndmask_b32_e64 v7, v15, v7, s0
	v_cndmask_b32_e32 v10, v14, v13, vcc_lo
	v_add_co_u32 v13, vcc_lo, v4, 1
	v_add_co_ci_u32_e32 v14, vcc_lo, 0, v9, vcc_lo
	v_cmp_ne_u32_e32 vcc_lo, 0, v10
	v_cndmask_b32_e32 v8, v14, v12, vcc_lo
	v_cndmask_b32_e32 v10, v13, v11, vcc_lo
	v_cmp_ne_u32_e32 vcc_lo, 0, v7
	v_cndmask_b32_e32 v8, v9, v8, vcc_lo
	v_cndmask_b32_e32 v7, v4, v10, vcc_lo
.LBB0_4:                                ;   in Loop: Header=BB0_2 Depth=1
	s_andn2_saveexec_b32 s0, s1
	s_cbranch_execz .LBB0_6
; %bb.5:                                ;   in Loop: Header=BB0_2 Depth=1
	v_cvt_f32_u32_e32 v4, s20
	s_sub_i32 s1, 0, s20
	v_rcp_iflag_f32_e32 v4, v4
	v_mul_f32_e32 v4, 0x4f7ffffe, v4
	v_cvt_u32_f32_e32 v4, v4
	v_mul_lo_u32 v7, s1, v4
	v_mul_hi_u32 v7, v4, v7
	v_add_nc_u32_e32 v4, v4, v7
	v_mul_hi_u32 v4, v5, v4
	v_mul_lo_u32 v7, v4, s20
	v_add_nc_u32_e32 v8, 1, v4
	v_sub_nc_u32_e32 v7, v5, v7
	v_subrev_nc_u32_e32 v9, s20, v7
	v_cmp_le_u32_e32 vcc_lo, s20, v7
	v_cndmask_b32_e32 v7, v7, v9, vcc_lo
	v_cndmask_b32_e32 v4, v4, v8, vcc_lo
	v_cmp_le_u32_e32 vcc_lo, s20, v7
	v_add_nc_u32_e32 v8, 1, v4
	v_cndmask_b32_e32 v7, v4, v8, vcc_lo
	v_mov_b32_e32 v8, v3
.LBB0_6:                                ;   in Loop: Header=BB0_2 Depth=1
	s_or_b32 exec_lo, exec_lo, s0
	s_load_dwordx2 s[0:1], s[6:7], 0x0
	v_mul_lo_u32 v4, v8, s20
	v_mul_lo_u32 v11, v7, s21
	v_mad_u64_u32 v[9:10], null, v7, s20, 0
	s_add_u32 s18, s18, 1
	s_addc_u32 s19, s19, 0
	s_add_u32 s6, s6, 8
	s_addc_u32 s7, s7, 0
	;; [unrolled: 2-line block ×3, first 2 shown]
	v_add3_u32 v4, v10, v11, v4
	v_sub_co_u32 v5, vcc_lo, v5, v9
	v_sub_co_ci_u32_e32 v4, vcc_lo, v6, v4, vcc_lo
	s_waitcnt lgkmcnt(0)
	v_mul_lo_u32 v6, s1, v5
	v_mul_lo_u32 v4, s0, v4
	v_mad_u64_u32 v[1:2], null, s0, v5, v[1:2]
	v_cmp_ge_u64_e64 s0, s[18:19], s[10:11]
	s_and_b32 vcc_lo, exec_lo, s0
	v_add3_u32 v2, v6, v2, v4
	s_cbranch_vccnz .LBB0_9
; %bb.7:                                ;   in Loop: Header=BB0_2 Depth=1
	v_mov_b32_e32 v5, v7
	v_mov_b32_e32 v6, v8
	s_branch .LBB0_2
.LBB0_8:
	v_mov_b32_e32 v8, v6
	v_mov_b32_e32 v7, v5
.LBB0_9:
	s_lshl_b64 s[0:1], s[10:11], 3
	v_mul_hi_u32 v3, 0x4104105, v0
	s_add_u32 s0, s14, s0
	s_addc_u32 s1, s15, s1
	s_load_dwordx2 s[4:5], s[4:5], 0x20
	s_load_dwordx2 s[0:1], s[0:1], 0x0
                                        ; implicit-def: $vgpr161
                                        ; implicit-def: $vgpr162
                                        ; implicit-def: $vgpr163
                                        ; implicit-def: $vgpr165
                                        ; implicit-def: $vgpr174
                                        ; implicit-def: $vgpr151
                                        ; implicit-def: $vgpr150
	v_mul_u32_u24_e32 v3, 63, v3
	v_sub_nc_u32_e32 v153, v0, v3
	v_add_nc_u32_e32 v158, 63, v153
	v_add_nc_u32_e32 v152, 0xfc, v153
	;; [unrolled: 1-line block ×3, first 2 shown]
	s_waitcnt lgkmcnt(0)
	v_cmp_gt_u64_e32 vcc_lo, s[4:5], v[7:8]
	v_mul_lo_u32 v3, s0, v8
	v_mul_lo_u32 v4, s1, v7
	v_mad_u64_u32 v[0:1], null, s0, v7, v[1:2]
	v_cmp_le_u64_e64 s0, s[4:5], v[7:8]
	v_add3_u32 v1, v4, v1, v3
	s_and_saveexec_b32 s1, s0
	s_xor_b32 s0, exec_lo, s1
; %bb.10:
	v_add_nc_u32_e32 v161, 63, v153
	v_add_nc_u32_e32 v162, 0x7e, v153
	;; [unrolled: 1-line block ×7, first 2 shown]
; %bb.11:
	s_or_saveexec_b32 s1, s0
	v_lshlrev_b64 v[0:1], 4, v[0:1]
                                        ; implicit-def: $vgpr122_vgpr123
                                        ; implicit-def: $vgpr130_vgpr131
                                        ; implicit-def: $vgpr126_vgpr127
                                        ; implicit-def: $vgpr42_vgpr43
                                        ; implicit-def: $vgpr70_vgpr71
                                        ; implicit-def: $vgpr74_vgpr75
                                        ; implicit-def: $vgpr46_vgpr47
                                        ; implicit-def: $vgpr94_vgpr95
                                        ; implicit-def: $vgpr78_vgpr79
                                        ; implicit-def: $vgpr54_vgpr55
                                        ; implicit-def: $vgpr102_vgpr103
                                        ; implicit-def: $vgpr82_vgpr83
                                        ; implicit-def: $vgpr58_vgpr59
                                        ; implicit-def: $vgpr106_vgpr107
                                        ; implicit-def: $vgpr90_vgpr91
                                        ; implicit-def: $vgpr62_vgpr63
                                        ; implicit-def: $vgpr110_vgpr111
                                        ; implicit-def: $vgpr98_vgpr99
                                        ; implicit-def: $vgpr66_vgpr67
                                        ; implicit-def: $vgpr114_vgpr115
                                        ; implicit-def: $vgpr86_vgpr87
                                        ; implicit-def: $vgpr50_vgpr51
                                        ; implicit-def: $vgpr118_vgpr119
                                        ; implicit-def: $vgpr6_vgpr7
                                        ; implicit-def: $vgpr2_vgpr3
                                        ; implicit-def: $vgpr14_vgpr15
                                        ; implicit-def: $vgpr10_vgpr11
	buffer_store_dword v0, off, s[28:31], 0 ; 4-byte Folded Spill
	buffer_store_dword v1, off, s[28:31], 0 offset:4 ; 4-byte Folded Spill
	s_xor_b32 exec_lo, exec_lo, s1
	s_cbranch_execz .LBB0_15
; %bb.12:
	s_clause 0x1
	buffer_load_dword v12, off, s[28:31], 0
	buffer_load_dword v13, off, s[28:31], 0 offset:4
	v_add_nc_u32_e32 v10, 0x20d, v153
	v_mad_u64_u32 v[0:1], null, s2, v153, 0
	v_mad_u64_u32 v[4:5], null, s2, v158, 0
	;; [unrolled: 1-line block ×3, first 2 shown]
	v_add_nc_u32_e32 v11, 0x41a, v153
	v_add_nc_u32_e32 v26, 0x7e, v153
	;; [unrolled: 1-line block ×5, first 2 shown]
	v_mad_u64_u32 v[6:7], null, s2, v11, 0
	v_mad_u64_u32 v[8:9], null, s3, v153, v[1:2]
	;; [unrolled: 1-line block ×4, first 2 shown]
	v_add_nc_u32_e32 v36, 0x2ca, v153
	v_add_nc_u32_e32 v38, 0x4d7, v153
	v_mov_b32_e32 v1, v8
	v_add_nc_u32_e32 v42, 0x309, v153
	v_mov_b32_e32 v3, v9
	v_mad_u64_u32 v[8:9], null, s3, v158, v[5:6]
	v_lshlrev_b64 v[0:1], 4, v[0:1]
	v_add_nc_u32_e32 v45, 0x516, v153
	v_lshlrev_b64 v[2:3], 4, v[2:3]
	v_add_nc_u32_e32 v49, 0x348, v153
	v_add_nc_u32_e32 v52, 0x555, v153
	v_add_nc_u32_e32 v55, 0x387, v153
	v_mad_u64_u32 v[9:10], null, s3, v11, v[7:8]
	v_add_nc_u32_e32 v10, 0x459, v153
	v_mov_b32_e32 v5, v8
	v_mad_u64_u32 v[40:41], null, s2, v45, 0
	v_add_nc_u32_e32 v59, 0x3c6, v153
	v_mad_u64_u32 v[20:21], null, s2, v10, 0
	v_mov_b32_e32 v7, v9
	v_lshlrev_b64 v[4:5], 4, v[4:5]
	v_add_nc_u32_e32 v60, 0x5d3, v153
	v_mad_u64_u32 v[57:58], null, s2, v59, 0
	v_lshlrev_b64 v[6:7], 4, v[6:7]
	s_mov_b32 s4, exec_lo
                                        ; implicit-def: $vgpr124_vgpr125
                                        ; implicit-def: $vgpr128_vgpr129
	s_waitcnt vmcnt(1)
	v_add_co_u32 v16, s0, s12, v12
	v_add_nc_u32_e32 v12, 0x24c, v153
	s_waitcnt vmcnt(0)
	v_add_co_ci_u32_e64 v17, s0, s13, v13, s0
	v_add_co_u32 v0, s0, v16, v0
	v_mad_u64_u32 v[18:19], null, s2, v12, 0
	v_add_co_ci_u32_e64 v1, s0, v17, v1, s0
	v_add_co_u32 v2, s0, v16, v2
	v_add_co_ci_u32_e64 v3, s0, v17, v3, s0
	v_mov_b32_e32 v8, v19
	v_add_co_u32 v6, s0, v16, v6
	v_add_co_ci_u32_e64 v7, s0, v17, v7, s0
	v_mad_u64_u32 v[8:9], null, s3, v12, v[8:9]
	v_mov_b32_e32 v9, v21
	v_add_co_u32 v4, s0, v16, v4
	v_add_co_ci_u32_e64 v5, s0, v17, v5, s0
	v_mad_u64_u32 v[24:25], null, s3, v10, v[9:10]
	v_mov_b32_e32 v19, v8
	s_clause 0x3
	global_load_dwordx4 v[8:11], v[0:1], off
	global_load_dwordx4 v[12:15], v[2:3], off
	;; [unrolled: 1-line block ×4, first 2 shown]
	v_lshlrev_b64 v[18:19], 4, v[18:19]
	v_mov_b32_e32 v21, v24
	v_mad_u64_u32 v[24:25], null, s2, v29, 0
	v_lshlrev_b64 v[20:21], 4, v[20:21]
	v_add_co_u32 v18, s0, v16, v18
	v_add_co_ci_u32_e64 v19, s0, v17, v19, s0
	v_mad_u64_u32 v[26:27], null, s3, v26, v[23:24]
	v_mad_u64_u32 v[27:28], null, s2, v31, 0
	v_mov_b32_e32 v23, v25
	v_add_co_u32 v20, s0, v16, v20
	v_add_co_ci_u32_e64 v21, s0, v17, v21, s0
	v_mad_u64_u32 v[29:30], null, s3, v29, v[23:24]
	v_mov_b32_e32 v23, v26
	v_mov_b32_e32 v26, v28
	v_lshlrev_b64 v[22:23], 4, v[22:23]
	v_mad_u64_u32 v[31:32], null, s3, v31, v[26:27]
	v_mov_b32_e32 v25, v29
	v_mad_u64_u32 v[29:30], null, s2, v33, 0
	v_add_co_u32 v22, s0, v16, v22
	v_lshlrev_b64 v[24:25], 4, v[24:25]
	v_mov_b32_e32 v28, v31
	v_mad_u64_u32 v[31:32], null, s2, v36, 0
	v_mov_b32_e32 v26, v30
	v_add_co_ci_u32_e64 v23, s0, v17, v23, s0
	v_add_co_u32 v24, s0, v16, v24
	v_mad_u64_u32 v[33:34], null, s3, v33, v[26:27]
	v_lshlrev_b64 v[27:28], 4, v[27:28]
	v_mov_b32_e32 v26, v32
	v_mad_u64_u32 v[34:35], null, s2, v38, 0
	v_add_co_ci_u32_e64 v25, s0, v17, v25, s0
	v_mad_u64_u32 v[36:37], null, s3, v36, v[26:27]
	v_mov_b32_e32 v30, v33
	v_add_co_u32 v26, s0, v16, v27
	v_add_co_ci_u32_e64 v27, s0, v17, v28, s0
	v_lshlrev_b64 v[28:29], 4, v[29:30]
	v_mov_b32_e32 v30, v35
	v_mov_b32_e32 v32, v36
	v_mad_u64_u32 v[36:37], null, s2, v152, 0
	v_mad_u64_u32 v[38:39], null, s3, v38, v[30:31]
	v_lshlrev_b64 v[30:31], 4, v[31:32]
	v_add_co_u32 v28, s0, v16, v28
	v_mov_b32_e32 v32, v37
	v_add_co_ci_u32_e64 v29, s0, v17, v29, s0
	v_mov_b32_e32 v35, v38
	v_mad_u64_u32 v[38:39], null, s2, v42, 0
	v_mad_u64_u32 v[32:33], null, s3, v152, v[32:33]
	v_lshlrev_b64 v[33:34], 4, v[34:35]
	v_add_co_u32 v30, s0, v16, v30
	v_add_co_ci_u32_e64 v31, s0, v17, v31, s0
	v_mov_b32_e32 v35, v39
	v_mov_b32_e32 v37, v32
	v_add_co_u32 v32, s0, v16, v33
	v_add_co_ci_u32_e64 v33, s0, v17, v34, s0
	v_mad_u64_u32 v[42:43], null, s3, v42, v[35:36]
	v_lshlrev_b64 v[35:36], 4, v[36:37]
	v_mad_u64_u32 v[43:44], null, s2, v159, 0
	v_mov_b32_e32 v34, v41
	v_mov_b32_e32 v39, v42
	v_mad_u64_u32 v[41:42], null, s3, v45, v[34:35]
	v_mad_u64_u32 v[45:46], null, s2, v49, 0
	v_mov_b32_e32 v34, v44
	v_add_co_u32 v35, s0, v16, v35
	v_lshlrev_b64 v[37:38], 4, v[38:39]
	v_lshlrev_b64 v[39:40], 4, v[40:41]
	v_add_co_ci_u32_e64 v36, s0, v17, v36, s0
	v_mad_u64_u32 v[47:48], null, s3, v159, v[34:35]
	v_mov_b32_e32 v34, v46
	v_add_co_u32 v37, s0, v16, v37
	v_add_co_ci_u32_e64 v38, s0, v17, v38, s0
	v_mad_u64_u32 v[41:42], null, s3, v49, v[34:35]
	v_mad_u64_u32 v[48:49], null, s2, v52, 0
	v_mov_b32_e32 v44, v47
	v_add_nc_u32_e32 v47, 0x17a, v153
	v_add_co_u32 v39, s0, v16, v39
	v_mov_b32_e32 v46, v41
	v_lshlrev_b64 v[42:43], 4, v[43:44]
	v_mov_b32_e32 v34, v49
	v_mad_u64_u32 v[50:51], null, s2, v47, 0
	v_add_co_ci_u32_e64 v40, s0, v17, v40, s0
	v_mad_u64_u32 v[52:53], null, s3, v52, v[34:35]
	v_mad_u64_u32 v[53:54], null, s2, v55, 0
	v_mov_b32_e32 v34, v51
	v_add_co_u32 v41, s0, v16, v42
	v_add_co_ci_u32_e64 v42, s0, v17, v43, s0
	v_mov_b32_e32 v49, v52
	v_add_nc_u32_e32 v52, 0x594, v153
	v_lshlrev_b64 v[43:44], 4, v[45:46]
	v_mad_u64_u32 v[45:46], null, s3, v47, v[34:35]
	v_mov_b32_e32 v34, v54
	v_mad_u64_u32 v[46:47], null, s2, v52, 0
	v_lshlrev_b64 v[48:49], 4, v[48:49]
	v_add_co_u32 v43, s0, v16, v43
	v_mov_b32_e32 v51, v45
	v_add_nc_u32_e32 v45, 0x1b9, v153
	v_mad_u64_u32 v[54:55], null, s3, v55, v[34:35]
	v_mov_b32_e32 v34, v47
	v_add_co_ci_u32_e64 v44, s0, v17, v44, s0
	v_add_co_u32 v68, s0, v16, v48
	v_mad_u64_u32 v[55:56], null, s2, v45, 0
	v_add_co_ci_u32_e64 v69, s0, v17, v49, s0
	v_lshlrev_b64 v[47:48], 4, v[50:51]
	v_mad_u64_u32 v[49:50], null, s3, v52, v[34:35]
	v_lshlrev_b64 v[50:51], 4, v[53:54]
	v_mov_b32_e32 v34, v56
	v_mad_u64_u32 v[52:53], null, s2, v60, 0
	v_add_co_u32 v70, s0, v16, v47
	v_mov_b32_e32 v47, v49
	v_add_co_ci_u32_e64 v71, s0, v17, v48, s0
	v_mad_u64_u32 v[48:49], null, s3, v45, v[34:35]
	v_mov_b32_e32 v34, v58
	v_lshlrev_b64 v[46:47], 4, v[46:47]
	v_mov_b32_e32 v45, v53
	v_add_co_u32 v72, s0, v16, v50
	v_mad_u64_u32 v[53:54], null, s3, v59, v[34:35]
	v_mad_u64_u32 v[59:60], null, s3, v60, v[45:46]
	v_mov_b32_e32 v56, v48
	v_add_co_ci_u32_e64 v73, s0, v17, v51, s0
	s_clause 0x1
	global_load_dwordx4 v[116:119], v[18:19], off
	global_load_dwordx4 v[48:51], v[20:21], off
	v_mov_b32_e32 v58, v53
	v_lshlrev_b64 v[18:19], 4, v[55:56]
	v_mov_b32_e32 v53, v59
	v_add_co_u32 v20, s0, v16, v46
	v_lshlrev_b64 v[45:46], 4, v[57:58]
	v_add_co_ci_u32_e64 v21, s0, v17, v47, s0
	v_add_co_u32 v18, s0, v16, v18
	v_lshlrev_b64 v[52:53], 4, v[52:53]
	v_add_co_ci_u32_e64 v19, s0, v17, v19, s0
	v_add_co_u32 v120, s0, v16, v45
	v_add_co_ci_u32_e64 v121, s0, v17, v46, s0
	v_add_co_u32 v122, s0, v16, v52
	v_add_co_ci_u32_e64 v123, s0, v17, v53, s0
	s_clause 0x11
	global_load_dwordx4 v[84:87], v[22:23], off
	global_load_dwordx4 v[112:115], v[24:25], off
	global_load_dwordx4 v[64:67], v[26:27], off
	global_load_dwordx4 v[96:99], v[28:29], off
	global_load_dwordx4 v[108:111], v[30:31], off
	global_load_dwordx4 v[60:63], v[32:33], off
	global_load_dwordx4 v[88:91], v[35:36], off
	global_load_dwordx4 v[104:107], v[37:38], off
	global_load_dwordx4 v[56:59], v[39:40], off
	global_load_dwordx4 v[80:83], v[41:42], off
	global_load_dwordx4 v[100:103], v[43:44], off
	global_load_dwordx4 v[52:55], v[68:69], off
	global_load_dwordx4 v[76:79], v[70:71], off
	global_load_dwordx4 v[92:95], v[72:73], off
	global_load_dwordx4 v[44:47], v[20:21], off
	global_load_dwordx4 v[72:75], v[18:19], off
	global_load_dwordx4 v[68:71], v[120:121], off
	global_load_dwordx4 v[40:43], v[122:123], off
                                        ; implicit-def: $vgpr120_vgpr121
	v_cmpx_gt_u32_e32 21, v153
	s_cbranch_execz .LBB0_14
; %bb.13:
	v_add_nc_u32_e32 v24, 0x1f8, v153
	v_add_nc_u32_e32 v26, 0x405, v153
	;; [unrolled: 1-line block ×3, first 2 shown]
	v_mad_u64_u32 v[18:19], null, s2, v24, 0
	v_mad_u64_u32 v[20:21], null, s2, v26, 0
	;; [unrolled: 1-line block ×6, first 2 shown]
	v_mov_b32_e32 v19, v24
	v_mov_b32_e32 v21, v25
	v_lshlrev_b64 v[18:19], 4, v[18:19]
	v_mov_b32_e32 v23, v26
	v_lshlrev_b64 v[20:21], 4, v[20:21]
	v_add_co_u32 v18, s0, v16, v18
	v_lshlrev_b64 v[22:23], 4, v[22:23]
	v_add_co_ci_u32_e64 v19, s0, v17, v19, s0
	v_add_co_u32 v20, s0, v16, v20
	v_add_co_ci_u32_e64 v21, s0, v17, v21, s0
	v_add_co_u32 v16, s0, v16, v22
	v_add_co_ci_u32_e64 v17, s0, v17, v23, s0
	s_clause 0x2
	global_load_dwordx4 v[124:127], v[18:19], off
	global_load_dwordx4 v[128:131], v[20:21], off
	;; [unrolled: 1-line block ×3, first 2 shown]
.LBB0_14:
	s_or_b32 exec_lo, exec_lo, s4
	v_add_nc_u32_e32 v150, 0x1b9, v153
	v_add_nc_u32_e32 v151, 0x17a, v153
	v_mov_b32_e32 v174, v159
	v_mov_b32_e32 v165, v152
	v_add_nc_u32_e32 v163, 0xbd, v153
	v_add_nc_u32_e32 v162, 0x7e, v153
	v_mov_b32_e32 v161, v158
.LBB0_15:
	s_or_b32 exec_lo, exec_lo, s1
	s_waitcnt vmcnt(21)
	v_add_f64 v[16:17], v[0:1], v[12:13]
	s_waitcnt vmcnt(18)
	v_add_f64 v[18:19], v[48:49], v[116:117]
	v_add_f64 v[20:21], v[12:13], v[8:9]
	v_add_f64 v[22:23], v[14:15], -v[2:3]
	s_waitcnt vmcnt(15)
	v_add_f64 v[26:27], v[64:65], v[112:113]
	s_waitcnt vmcnt(12)
	v_add_f64 v[30:31], v[60:61], v[108:109]
	;; [unrolled: 2-line block ×6, first 2 shown]
	v_add_f64 v[142:143], v[120:121], v[128:129]
	v_add_f64 v[24:25], v[116:117], v[4:5]
	v_add_f64 v[28:29], v[118:119], -v[50:51]
	s_mov_b32 s0, 0xe8584caa
	s_mov_b32 s1, 0x3febb67a
	;; [unrolled: 1-line block ×4, first 2 shown]
	v_add_f64 v[32:33], v[114:115], -v[66:67]
	v_add_f64 v[36:37], v[112:113], v[84:85]
	v_add_f64 v[134:135], v[108:109], v[96:97]
	v_add_f64 v[138:139], v[106:107], -v[58:59]
	v_add_f64 v[144:145], v[100:101], v[80:81]
	v_fma_f64 v[8:9], v[16:17], -0.5, v[8:9]
	v_fma_f64 v[4:5], v[18:19], -0.5, v[4:5]
	v_add_f64 v[16:17], v[110:111], -v[62:63]
	v_add_f64 v[18:19], v[104:105], v[88:89]
	v_add_f64 v[146:147], v[102:103], -v[54:55]
	v_add_f64 v[148:149], v[92:93], v[76:77]
	v_add_f64 v[168:169], v[94:95], -v[46:47]
	v_fma_f64 v[26:27], v[26:27], -0.5, v[84:85]
	v_add_f64 v[84:85], v[68:69], v[72:73]
	v_add_f64 v[170:171], v[70:71], -v[42:43]
	v_fma_f64 v[30:31], v[30:31], -0.5, v[96:97]
	v_add_f64 v[96:97], v[130:131], -v[122:123]
	v_fma_f64 v[34:35], v[34:35], -0.5, v[88:89]
	v_fma_f64 v[38:39], v[38:39], -0.5, v[80:81]
	v_add_f64 v[20:21], v[0:1], v[20:21]
	v_fma_f64 v[76:77], v[132:133], -0.5, v[76:77]
	v_add_f64 v[88:89], v[128:129], v[124:125]
	v_fma_f64 v[72:73], v[136:137], -0.5, v[72:73]
	v_fma_f64 v[124:125], v[142:143], -0.5, v[124:125]
	v_add_f64 v[24:25], v[48:49], v[24:25]
	v_mad_u32_u24 v160, v153, 24, 0
	v_mad_i32_i24 v166, v161, 24, 0
	v_fma_f64 v[80:81], v[22:23], s[0:1], v[8:9]
	v_fma_f64 v[8:9], v[22:23], s[4:5], v[8:9]
	;; [unrolled: 1-line block ×4, first 2 shown]
	v_add_f64 v[36:37], v[64:65], v[36:37]
	v_add_f64 v[132:133], v[60:61], v[134:135]
	;; [unrolled: 1-line block ×3, first 2 shown]
	v_fma_f64 v[134:135], v[32:33], s[0:1], v[26:27]
	v_add_f64 v[136:137], v[44:45], v[148:149]
	v_fma_f64 v[26:27], v[32:33], s[4:5], v[26:27]
	v_fma_f64 v[32:33], v[16:17], s[0:1], v[30:31]
	;; [unrolled: 1-line block ×10, first 2 shown]
	v_add_f64 v[18:19], v[56:57], v[18:19]
	v_mad_i32_i24 v167, v162, 24, 0
	v_mad_i32_i24 v172, v151, 24, 0
	ds_write2_b64 v160, v[20:21], v[80:81] offset1:1
	ds_write_b64 v160, v[8:9] offset:16
	ds_write2_b64 v166, v[24:25], v[22:23] offset1:1
	v_fma_f64 v[22:23], v[170:171], s[0:1], v[72:73]
	v_fma_f64 v[24:25], v[170:171], s[4:5], v[72:73]
	;; [unrolled: 1-line block ×3, first 2 shown]
	v_add_f64 v[72:73], v[120:121], v[88:89]
	v_add_f64 v[20:21], v[40:41], v[84:85]
	v_mul_u32_u24_e32 v9, 24, v153
	ds_write_b64 v166, v[4:5] offset:16
	v_mad_i32_i24 v8, v163, 24, 0
	v_mad_i32_i24 v5, v165, 24, 0
	;; [unrolled: 1-line block ×4, first 2 shown]
	v_cmp_gt_u32_e64 s0, 21, v153
	v_add_nc_u32_e32 v9, 0, v9
	ds_write2_b64 v167, v[36:37], v[134:135] offset1:1
	ds_write_b64 v167, v[26:27] offset:16
	ds_write2_b64 v8, v[132:133], v[32:33] offset1:1
	ds_write_b64 v8, v[16:17] offset:16
	ds_write2_b64 v5, v[18:19], v[30:31] offset1:1
	ds_write_b64 v5, v[34:35] offset:16
	ds_write2_b64 v4, v[28:29], v[138:139] offset1:1
	ds_write_b64 v4, v[38:39] offset:16
	ds_write2_b64 v172, v[136:137], v[142:143] offset1:1
	ds_write_b64 v172, v[144:145] offset:16
	ds_write2_b64 v171, v[20:21], v[22:23] offset1:1
	ds_write_b64 v171, v[24:25] offset:16
	s_and_saveexec_b32 s1, s0
	s_cbranch_execz .LBB0_17
; %bb.16:
	v_add_nc_u32_e32 v16, 0x2f40, v9
	ds_write2_b64 v16, v[72:73], v[76:77] offset1:1
	ds_write_b64 v9, v[80:81] offset:12112
.LBB0_17:
	s_or_b32 exec_lo, exec_lo, s1
	v_lshl_add_u32 v164, v153, 3, 0
	v_lshlrev_b32_e32 v168, 4, v161
	v_lshlrev_b32_e32 v169, 4, v162
	;; [unrolled: 1-line block ×4, first 2 shown]
	v_add_nc_u32_e32 v16, 0x1000, v164
	v_add_nc_u32_e32 v17, 0x2000, v164
	v_sub_nc_u32_e32 v18, v166, v168
	v_sub_nc_u32_e32 v19, v167, v169
	v_lshlrev_b32_e32 v178, 4, v174
	s_waitcnt lgkmcnt(0)
	s_waitcnt_vscnt null, 0x0
	s_barrier
	buffer_gl0_inv
	ds_read2_b64 v[136:139], v16 offset0:13 offset1:76
	ds_read2_b64 v[132:135], v17 offset0:26 offset1:89
	;; [unrolled: 1-line block ×4, first 2 shown]
	v_sub_nc_u32_e32 v16, v8, v170
	v_lshlrev_b32_e32 v176, 4, v151
	v_lshlrev_b32_e32 v160, 4, v150
	ds_read_b64 v[124:125], v164
	ds_read_b64 v[96:97], v18
	;; [unrolled: 1-line block ×4, first 2 shown]
	v_add_nc_u32_e32 v16, 0x1800, v164
	v_add_nc_u32_e32 v24, 0x2800, v164
	v_sub_nc_u32_e32 v142, v5, v177
	v_sub_nc_u32_e32 v143, v4, v178
	v_sub_nc_u32_e32 v144, v172, v176
	v_sub_nc_u32_e32 v173, v171, v160
	ds_read2_b64 v[32:35], v16 offset0:9 offset1:72
	ds_read2_b64 v[20:23], v24 offset0:22 offset1:85
	;; [unrolled: 1-line block ×4, first 2 shown]
	ds_read_b64 v[148:149], v142
	ds_read_b64 v[146:147], v143
	;; [unrolled: 1-line block ×4, first 2 shown]
	s_and_saveexec_b32 s1, s0
	s_cbranch_execz .LBB0_19
; %bb.18:
	ds_read_b64 v[72:73], v164 offset:4032
	ds_read_b64 v[76:77], v164 offset:8232
	;; [unrolled: 1-line block ×3, first 2 shown]
.LBB0_19:
	s_or_b32 exec_lo, exec_lo, s1
	v_add_f64 v[179:180], v[2:3], v[14:15]
	v_add_f64 v[14:15], v[14:15], v[10:11]
	;; [unrolled: 1-line block ×3, first 2 shown]
	v_add_f64 v[0:1], v[12:13], -v[0:1]
	v_add_f64 v[12:13], v[62:63], v[110:111]
	v_add_f64 v[183:184], v[58:59], v[106:107]
	v_add_f64 v[48:49], v[116:117], -v[48:49]
	v_add_f64 v[116:117], v[54:55], v[102:103]
	v_add_f64 v[185:186], v[46:47], v[94:95]
	v_add_f64 v[64:65], v[112:113], -v[64:65]
	v_add_f64 v[112:113], v[42:43], v[70:71]
	v_add_f64 v[60:61], v[108:109], -v[60:61]
	v_add_f64 v[108:109], v[122:123], v[130:131]
	v_sub_nc_u32_e32 v175, 0, v168
	v_sub_nc_u32_e32 v173, 0, v169
	;; [unrolled: 1-line block ×5, first 2 shown]
	v_add_f64 v[177:178], v[50:51], v[118:119]
	s_mov_b32 s4, 0xe8584caa
	s_mov_b32 s5, 0xbfebb67a
	;; [unrolled: 1-line block ×3, first 2 shown]
	v_fma_f64 v[10:11], v[179:180], -0.5, v[10:11]
	s_mov_b32 s6, s4
	v_add_f64 v[114:115], v[114:115], v[86:87]
	v_add_f64 v[110:111], v[110:111], v[98:99]
	;; [unrolled: 1-line block ×3, first 2 shown]
	v_add_f64 v[56:57], v[104:105], -v[56:57]
	v_add_f64 v[102:103], v[102:103], v[82:83]
	v_fma_f64 v[86:87], v[181:182], -0.5, v[86:87]
	v_add_f64 v[52:53], v[100:101], -v[52:53]
	v_add_f64 v[94:95], v[94:95], v[78:79]
	v_fma_f64 v[12:13], v[12:13], -0.5, v[98:99]
	;; [unrolled: 3-line block ×3, first 2 shown]
	v_add_f64 v[2:3], v[2:3], v[14:15]
	v_fma_f64 v[14:15], v[116:117], -0.5, v[82:83]
	v_fma_f64 v[78:79], v[185:186], -0.5, v[78:79]
	v_add_f64 v[40:41], v[68:69], -v[40:41]
	v_add_f64 v[68:69], v[130:131], v[126:127]
	v_add_f64 v[98:99], v[128:129], -v[120:121]
	v_add_f64 v[118:119], v[118:119], v[6:7]
	v_fma_f64 v[6:7], v[177:178], -0.5, v[6:7]
	v_fma_f64 v[92:93], v[0:1], s[4:5], v[10:11]
	v_fma_f64 v[0:1], v[0:1], s[6:7], v[10:11]
	v_fma_f64 v[10:11], v[112:113], -0.5, v[74:75]
	v_fma_f64 v[74:75], v[108:109], -0.5, v[126:127]
	v_add_f64 v[66:67], v[66:67], v[114:115]
	v_add_f64 v[62:63], v[62:63], v[110:111]
	v_add_f64 v[54:55], v[54:55], v[102:103]
	v_fma_f64 v[104:105], v[64:65], s[4:5], v[86:87]
	v_fma_f64 v[64:65], v[64:65], s[6:7], v[86:87]
	v_add_f64 v[58:59], v[58:59], v[106:107]
	v_fma_f64 v[86:87], v[60:61], s[4:5], v[12:13]
	v_fma_f64 v[12:13], v[60:61], s[6:7], v[12:13]
	v_add_f64 v[46:47], v[46:47], v[94:95]
	v_fma_f64 v[60:61], v[56:57], s[4:5], v[90:91]
	v_fma_f64 v[90:91], v[56:57], s[6:7], v[90:91]
	v_fma_f64 v[102:103], v[52:53], s[4:5], v[14:15]
	v_fma_f64 v[14:15], v[52:53], s[6:7], v[14:15]
	v_fma_f64 v[52:53], v[44:45], s[4:5], v[78:79]
	v_fma_f64 v[44:45], v[44:45], s[6:7], v[78:79]
	v_add_f64 v[56:57], v[122:123], v[68:69]
	v_add_f64 v[50:51], v[50:51], v[118:119]
	v_fma_f64 v[100:101], v[48:49], s[4:5], v[6:7]
	v_fma_f64 v[48:49], v[48:49], s[6:7], v[6:7]
	v_add_f64 v[42:43], v[42:43], v[70:71]
	v_fma_f64 v[70:71], v[40:41], s[4:5], v[10:11]
	v_fma_f64 v[82:83], v[98:99], s[4:5], v[74:75]
	;; [unrolled: 1-line block ×4, first 2 shown]
	v_sub_nc_u32_e32 v176, 0, v176
	v_sub_nc_u32_e32 v6, 0, v160
	v_add_nc_u32_e32 v160, 0x1f8, v153
	s_waitcnt lgkmcnt(0)
	s_barrier
	buffer_gl0_inv
	ds_write2_b64 v9, v[2:3], v[92:93] offset1:1
	ds_write_b64 v9, v[0:1] offset:16
	ds_write2_b64 v166, v[50:51], v[100:101] offset1:1
	ds_write_b64 v166, v[48:49] offset:16
	;; [unrolled: 2-line block ×8, first 2 shown]
	s_and_saveexec_b32 s1, s0
	s_cbranch_execz .LBB0_21
; %bb.20:
	v_mad_u32_u24 v0, v160, 24, 0
	ds_write2_b64 v0, v[56:57], v[82:83] offset1:1
	ds_write_b64 v0, v[78:79] offset:16
.LBB0_21:
	s_or_b32 exec_lo, exec_lo, s1
	v_add_nc_u32_e32 v0, 0x1000, v164
	v_add_nc_u32_e32 v1, 0x2000, v164
	s_waitcnt lgkmcnt(0)
	s_barrier
	buffer_gl0_inv
	ds_read2_b64 v[52:55], v0 offset0:13 offset1:76
	ds_read2_b64 v[48:51], v1 offset0:26 offset1:89
	;; [unrolled: 1-line block ×4, first 2 shown]
	v_add_nc_u32_e32 v0, 0x1800, v164
	v_add_nc_u32_e32 v7, 0x2800, v164
	;; [unrolled: 1-line block ×9, first 2 shown]
	ds_read_b64 v[66:67], v164
	ds_read_b64 v[62:63], v166
	;; [unrolled: 1-line block ×4, first 2 shown]
	ds_read2_b64 v[40:43], v0 offset0:9 offset1:72
	ds_read2_b64 v[8:11], v7 offset0:22 offset1:85
	;; [unrolled: 1-line block ×4, first 2 shown]
	ds_read_b64 v[74:75], v169
	ds_read_b64 v[70:71], v170
	;; [unrolled: 1-line block ×4, first 2 shown]
	s_and_saveexec_b32 s1, s0
	s_cbranch_execz .LBB0_23
; %bb.22:
	ds_read_b64 v[56:57], v164 offset:4032
	ds_read_b64 v[82:83], v164 offset:8232
	;; [unrolled: 1-line block ×3, first 2 shown]
.LBB0_23:
	s_or_b32 exec_lo, exec_lo, s1
	v_and_b32_e32 v104, 0xff, v153
	v_and_b32_e32 v173, 0xff, v161
	v_mov_b32_e32 v103, 5
	v_and_b32_e32 v172, 0xff, v162
	v_and_b32_e32 v171, 0xff, v163
	v_mul_lo_u16 v86, 0xab, v104
	v_mul_lo_u16 v87, 0xab, v173
	s_mov_b32 s4, 0xe8584caa
	s_mov_b32 s5, 0x3febb67a
	;; [unrolled: 1-line block ×3, first 2 shown]
	v_lshrrev_b16 v100, 9, v86
	v_lshrrev_b16 v101, 9, v87
	s_mov_b32 s6, s4
	v_mul_lo_u16 v86, v100, 3
	v_mul_lo_u16 v87, v101, 3
	v_sub_nc_u16 v99, v153, v86
	v_sub_nc_u16 v98, v161, v87
	v_lshlrev_b32_sdwa v86, v103, v99 dst_sel:DWORD dst_unused:UNUSED_PAD src0_sel:DWORD src1_sel:BYTE_0
	v_lshlrev_b32_sdwa v87, v103, v98 dst_sel:DWORD dst_unused:UNUSED_PAD src0_sel:DWORD src1_sel:BYTE_0
	s_clause 0x3
	global_load_dwordx4 v[90:93], v86, s[8:9]
	global_load_dwordx4 v[105:108], v87, s[8:9]
	global_load_dwordx4 v[111:114], v86, s[8:9] offset:16
	global_load_dwordx4 v[115:118], v87, s[8:9] offset:16
	v_mul_lo_u16 v86, 0xab, v172
	v_mul_lo_u16 v87, 0xab, v171
	v_lshrrev_b16 v102, 9, v86
	v_lshrrev_b16 v207, 9, v87
	v_mul_lo_u16 v86, v102, 3
	v_mul_lo_u16 v87, v207, 3
	v_sub_nc_u16 v123, v162, v86
	v_sub_nc_u16 v208, v163, v87
	v_mov_b32_e32 v87, 0xaaab
	v_lshlrev_b32_sdwa v86, v103, v123 dst_sel:DWORD dst_unused:UNUSED_PAD src0_sel:DWORD src1_sel:BYTE_0
	v_lshlrev_b32_sdwa v94, v103, v208 dst_sel:DWORD dst_unused:UNUSED_PAD src0_sel:DWORD src1_sel:BYTE_0
	v_mul_u32_u24_sdwa v95, v165, v87 dst_sel:DWORD dst_unused:UNUSED_PAD src0_sel:WORD_0 src1_sel:DWORD
	v_mul_u32_u24_sdwa v109, v174, v87 dst_sel:DWORD dst_unused:UNUSED_PAD src0_sel:WORD_0 src1_sel:DWORD
	;; [unrolled: 1-line block ×3, first 2 shown]
	s_clause 0x3
	global_load_dwordx4 v[119:122], v86, s[8:9]
	global_load_dwordx4 v[175:178], v86, s[8:9] offset:16
	global_load_dwordx4 v[126:129], v94, s[8:9]
	global_load_dwordx4 v[179:182], v94, s[8:9] offset:16
	v_lshrrev_b32_e32 v209, 17, v95
	v_mul_u32_u24_sdwa v130, v150, v87 dst_sel:DWORD dst_unused:UNUSED_PAD src0_sel:WORD_0 src1_sel:DWORD
	v_mul_u32_u24_sdwa v87, v160, v87 dst_sel:DWORD dst_unused:UNUSED_PAD src0_sel:WORD_0 src1_sel:DWORD
	v_lshrrev_b32_e32 v210, 17, v109
	v_lshrrev_b32_e32 v211, 17, v110
	v_mul_lo_u16 v86, v209, 3
	v_lshrrev_b32_e32 v212, 17, v130
	v_lshrrev_b32_e32 v213, 17, v87
	v_mul_lo_u16 v95, v210, 3
	v_mul_lo_u16 v109, v211, 3
	v_sub_nc_u16 v214, v165, v86
	v_mul_lo_u16 v110, v212, 3
	v_mul_lo_u16 v192, v213, 3
	v_sub_nc_u16 v174, v174, v95
	v_sub_nc_u16 v151, v151, v109
	v_lshlrev_b32_sdwa v191, v103, v214 dst_sel:DWORD dst_unused:UNUSED_PAD src0_sel:DWORD src1_sel:WORD_0
	v_sub_nc_u16 v215, v150, v110
	v_sub_nc_u16 v110, v160, v192
	v_lshlrev_b32_sdwa v195, v103, v174 dst_sel:DWORD dst_unused:UNUSED_PAD src0_sel:DWORD src1_sel:WORD_0
	v_lshlrev_b32_sdwa v109, v103, v151 dst_sel:DWORD dst_unused:UNUSED_PAD src0_sel:DWORD src1_sel:WORD_0
	global_load_dwordx4 v[183:186], v191, s[8:9]
	v_mul_u32_u24_e32 v209, 0x48, v209
	v_mul_u32_u24_e32 v210, 0x48, v210
	global_load_dwordx4 v[187:190], v195, s[8:9]
	v_mul_u32_u24_e32 v211, 0x48, v211
	v_mul_u32_u24_e32 v212, 0x48, v212
	s_waitcnt vmcnt(9) lgkmcnt(15)
	v_mul_f64 v[86:87], v[52:53], v[92:93]
	v_mul_f64 v[92:93], v[136:137], v[92:93]
	s_waitcnt vmcnt(8)
	v_mul_f64 v[94:95], v[54:55], v[107:108]
	v_mul_f64 v[107:108], v[138:139], v[107:108]
	s_waitcnt vmcnt(7) lgkmcnt(14)
	v_mul_f64 v[130:131], v[48:49], v[113:114]
	s_waitcnt vmcnt(6)
	v_mul_f64 v[203:204], v[50:51], v[117:118]
	v_mul_f64 v[117:118], v[134:135], v[117:118]
	;; [unrolled: 1-line block ×3, first 2 shown]
	v_fma_f64 v[86:87], v[136:137], v[90:91], -v[86:87]
	v_fma_f64 v[90:91], v[52:53], v[90:91], v[92:93]
	v_lshlrev_b32_sdwa v92, v103, v215 dst_sel:DWORD dst_unused:UNUSED_PAD src0_sel:DWORD src1_sel:WORD_0
	v_lshlrev_b32_sdwa v103, v103, v110 dst_sel:DWORD dst_unused:UNUSED_PAD src0_sel:DWORD src1_sel:WORD_0
	v_fma_f64 v[52:53], v[138:139], v[105:106], -v[94:95]
	s_clause 0x2
	global_load_dwordx4 v[136:139], v109, s[8:9]
	global_load_dwordx4 v[191:194], v191, s[8:9] offset:16
	global_load_dwordx4 v[195:198], v195, s[8:9] offset:16
	v_fma_f64 v[54:55], v[54:55], v[105:106], v[107:108]
	s_clause 0x1
	global_load_dwordx4 v[106:109], v109, s[8:9] offset:16
	global_load_dwordx4 v[199:202], v92, s[8:9] offset:16
	v_fma_f64 v[94:95], v[132:133], v[111:112], -v[130:131]
	global_load_dwordx4 v[130:133], v92, s[8:9]
	v_fma_f64 v[92:93], v[134:135], v[115:116], -v[203:204]
	global_load_dwordx4 v[203:206], v103, s[8:9]
	v_fma_f64 v[50:51], v[50:51], v[115:116], v[117:118]
	global_load_dwordx4 v[115:118], v103, s[8:9] offset:16
	v_fma_f64 v[48:49], v[48:49], v[111:112], v[113:114]
	s_waitcnt vmcnt(13) lgkmcnt(13)
	v_mul_f64 v[111:112], v[44:45], v[121:122]
	v_mul_f64 v[113:114], v[36:37], v[121:122]
	s_waitcnt vmcnt(11)
	v_mul_f64 v[121:122], v[46:47], v[128:129]
	v_mov_b32_e32 v103, 0x48
	v_mov_b32_e32 v105, 3
	s_waitcnt vmcnt(0) lgkmcnt(0)
	s_barrier
	buffer_gl0_inv
	v_mul_u32_u24_sdwa v216, v101, v103 dst_sel:DWORD dst_unused:UNUSED_PAD src0_sel:WORD_0 src1_sel:DWORD
	v_mul_u32_u24_sdwa v217, v102, v103 dst_sel:DWORD dst_unused:UNUSED_PAD src0_sel:WORD_0 src1_sel:DWORD
	;; [unrolled: 1-line block ×3, first 2 shown]
	v_lshlrev_b32_sdwa v123, v105, v123 dst_sel:DWORD dst_unused:UNUSED_PAD src0_sel:DWORD src1_sel:BYTE_0
	v_fma_f64 v[36:37], v[36:37], v[119:120], -v[111:112]
	v_mul_f64 v[111:112], v[38:39], v[128:129]
	v_fma_f64 v[44:45], v[44:45], v[119:120], v[113:114]
	v_mul_f64 v[113:114], v[12:13], v[177:178]
	v_fma_f64 v[38:39], v[38:39], v[126:127], -v[121:122]
	v_mul_f64 v[119:120], v[28:29], v[177:178]
	v_mul_u32_u24_sdwa v128, v100, v103 dst_sel:DWORD dst_unused:UNUSED_PAD src0_sel:WORD_0 src1_sel:DWORD
	v_mul_f64 v[100:101], v[14:15], v[181:182]
	v_mul_f64 v[102:103], v[30:31], v[181:182]
	;; [unrolled: 1-line block ×3, first 2 shown]
	v_fma_f64 v[46:47], v[46:47], v[126:127], v[111:112]
	v_mul_f64 v[126:127], v[32:33], v[185:186]
	v_lshlrev_b32_sdwa v112, v105, v99 dst_sel:DWORD dst_unused:UNUSED_PAD src0_sel:DWORD src1_sel:BYTE_0
	v_mul_lo_u16 v111, v213, 9
	v_lshlrev_b32_sdwa v185, v105, v98 dst_sel:DWORD dst_unused:UNUSED_PAD src0_sel:DWORD src1_sel:BYTE_0
	v_mul_f64 v[98:99], v[42:43], v[189:190]
	v_fma_f64 v[28:29], v[28:29], v[175:176], -v[113:114]
	v_fma_f64 v[12:13], v[12:13], v[175:176], v[119:120]
	v_mul_f64 v[113:114], v[34:35], v[189:190]
	v_lshlrev_b32_sdwa v189, v105, v208 dst_sel:DWORD dst_unused:UNUSED_PAD src0_sel:DWORD src1_sel:BYTE_0
	v_lshlrev_b32_sdwa v208, v105, v174 dst_sel:DWORD dst_unused:UNUSED_PAD src0_sel:DWORD src1_sel:WORD_0
	v_lshlrev_b32_sdwa v213, v105, v151 dst_sel:DWORD dst_unused:UNUSED_PAD src0_sel:DWORD src1_sel:WORD_0
	v_add3_u32 v112, 0, v128, v112
	v_fma_f64 v[30:31], v[30:31], v[179:180], -v[100:101]
	v_fma_f64 v[14:15], v[14:15], v[179:180], v[102:103]
	v_fma_f64 v[32:33], v[32:33], v[183:184], -v[121:122]
	v_lshlrev_b32_sdwa v190, v105, v214 dst_sel:DWORD dst_unused:UNUSED_PAD src0_sel:DWORD src1_sel:WORD_0
	v_fma_f64 v[40:41], v[40:41], v[183:184], v[126:127]
	v_fma_f64 v[34:35], v[34:35], v[187:188], -v[98:99]
	v_fma_f64 v[42:43], v[42:43], v[187:188], v[113:114]
	v_add3_u32 v114, 0, v217, v123
	v_add3_u32 v113, 0, v216, v185
	v_lshlrev_b32_sdwa v188, v105, v215 dst_sel:DWORD dst_unused:UNUSED_PAD src0_sel:DWORD src1_sel:WORD_0
	v_mul_f64 v[150:151], v[0:1], v[138:139]
	v_mul_f64 v[119:120], v[8:9], v[193:194]
	;; [unrolled: 1-line block ×16, first 2 shown]
	v_fma_f64 v[102:103], v[20:21], v[191:192], -v[119:120]
	v_fma_f64 v[20:21], v[8:9], v[191:192], v[100:101]
	v_fma_f64 v[98:99], v[22:23], v[195:196], -v[128:129]
	v_fma_f64 v[8:9], v[10:11], v[195:196], v[134:135]
	v_fma_f64 v[22:23], v[16:17], v[136:137], -v[150:151]
	v_fma_f64 v[100:101], v[24:25], v[106:107], -v[174:175]
	v_fma_f64 v[10:11], v[18:19], v[130:131], -v[121:122]
	v_fma_f64 v[18:19], v[26:27], v[199:200], -v[126:127]
	v_fma_f64 v[16:17], v[76:77], v[203:204], -v[176:177]
	v_fma_f64 v[24:25], v[80:81], v[115:116], -v[178:179]
	v_fma_f64 v[80:81], v[0:1], v[136:137], v[138:139]
	v_fma_f64 v[26:27], v[2:3], v[130:131], v[132:133]
	;; [unrolled: 1-line block ×4, first 2 shown]
	v_add_f64 v[0:1], v[86:87], v[94:95]
	v_fma_f64 v[78:79], v[78:79], v[115:116], v[117:118]
	v_add_f64 v[6:7], v[52:53], v[92:93]
	v_add_f64 v[82:83], v[124:125], v[86:87]
	v_fma_f64 v[4:5], v[4:5], v[106:107], v[108:109]
	v_add_f64 v[106:107], v[36:37], v[28:29]
	v_add_f64 v[115:116], v[38:39], v[30:31]
	v_add_f64 v[108:109], v[90:91], -v[48:49]
	v_add_f64 v[119:120], v[32:33], v[102:103]
	v_add_f64 v[121:122], v[54:55], -v[50:51]
	v_add_f64 v[126:127], v[34:35], v[98:99]
	v_add_f64 v[174:175], v[148:149], v[32:33]
	v_add_f64 v[176:177], v[146:147], v[34:35]
	v_add_f64 v[130:131], v[22:23], v[100:101]
	v_add_f64 v[178:179], v[144:145], v[22:23]
	v_add_f64 v[134:135], v[10:11], v[18:19]
	v_add_f64 v[117:118], v[96:97], v[52:53]
	v_add_f64 v[138:139], v[16:17], v[24:25]
	v_add_f64 v[128:129], v[88:89], v[36:37]
	v_add_f64 v[132:133], v[44:45], -v[12:13]
	v_add_f64 v[180:181], v[142:143], v[10:11]
	v_add_f64 v[136:137], v[84:85], v[38:39]
	v_fma_f64 v[0:1], v[0:1], -0.5, v[124:125]
	v_add_f64 v[150:151], v[46:47], -v[14:15]
	v_fma_f64 v[6:7], v[6:7], -0.5, v[96:97]
	v_add_f64 v[123:124], v[40:41], -v[20:21]
	v_add_f64 v[96:97], v[42:43], -v[8:9]
	v_fma_f64 v[88:89], v[106:107], -0.5, v[88:89]
	v_fma_f64 v[84:85], v[115:116], -0.5, v[84:85]
	v_add_f64 v[106:107], v[80:81], -v[4:5]
	v_fma_f64 v[119:120], v[119:120], -0.5, v[148:149]
	v_add_f64 v[148:149], v[76:77], -v[78:79]
	v_fma_f64 v[125:126], v[126:127], -0.5, v[146:147]
	v_add_f64 v[146:147], v[82:83], v[94:95]
	v_add_f64 v[115:116], v[26:27], -v[2:3]
	v_fma_f64 v[82:83], v[130:131], -0.5, v[144:145]
	v_add_f64 v[144:145], v[178:179], v[100:101]
	v_fma_f64 v[130:131], v[134:135], -0.5, v[142:143]
	v_add_f64 v[142:143], v[176:177], v[98:99]
	;; [unrolled: 2-line block ×3, first 2 shown]
	v_add_f64 v[127:128], v[128:129], v[28:29]
	v_add_f64 v[138:139], v[174:175], v[102:103]
	;; [unrolled: 1-line block ×3, first 2 shown]
	v_fma_f64 v[176:177], v[108:109], s[4:5], v[0:1]
	v_fma_f64 v[108:109], v[108:109], s[6:7], v[0:1]
	;; [unrolled: 1-line block ×4, first 2 shown]
	v_add_f64 v[136:137], v[136:137], v[30:31]
	v_fma_f64 v[180:181], v[132:133], s[4:5], v[88:89]
	v_fma_f64 v[132:133], v[132:133], s[6:7], v[88:89]
	;; [unrolled: 1-line block ×14, first 2 shown]
	v_add3_u32 v88, 0, v207, v189
	v_add3_u32 v85, 0, v209, v190
	;; [unrolled: 1-line block ×5, first 2 shown]
	ds_write2_b64 v112, v[146:147], v[176:177] offset1:3
	ds_write_b64 v112, v[108:109] offset:48
	ds_write2_b64 v113, v[117:118], v[178:179] offset1:3
	ds_write_b64 v113, v[121:122] offset:48
	;; [unrolled: 2-line block ×8, first 2 shown]
	s_and_saveexec_b32 s1, s0
	s_cbranch_execz .LBB0_25
; %bb.24:
	v_add_f64 v[72:73], v[72:73], v[16:17]
	v_lshlrev_b32_sdwa v89, v105, v110 dst_sel:DWORD dst_unused:UNUSED_PAD src0_sel:DWORD src1_sel:WORD_0
	v_lshlrev_b32_sdwa v96, v105, v111 dst_sel:DWORD dst_unused:UNUSED_PAD src0_sel:DWORD src1_sel:WORD_0
	v_add3_u32 v89, 0, v89, v96
	v_add_f64 v[72:73], v[72:73], v[24:25]
	ds_write2_b64 v89, v[72:73], v[6:7] offset1:3
	ds_write_b64 v89, v[0:1] offset:48
.LBB0_25:
	s_or_b32 exec_lo, exec_lo, s1
	v_add_f64 v[105:106], v[44:45], v[12:13]
	v_add_f64 v[72:73], v[90:91], v[48:49]
	;; [unrolled: 1-line block ×6, first 2 shown]
	v_add_f64 v[86:87], v[86:87], -v[94:95]
	v_add_f64 v[94:95], v[42:43], v[8:9]
	v_add_f64 v[52:53], v[52:53], -v[92:93]
	v_add_f64 v[91:92], v[80:81], v[4:5]
	v_add_f64 v[44:45], v[60:61], v[44:45]
	v_add_f64 v[28:29], v[36:37], -v[28:29]
	v_add_f64 v[36:37], v[26:27], v[2:3]
	v_add_f64 v[117:118], v[76:77], v[78:79]
	;; [unrolled: 1-line block ×4, first 2 shown]
	v_add_f64 v[30:31], v[38:39], -v[30:31]
	v_add_f64 v[40:41], v[74:75], v[40:41]
	v_add_f64 v[32:33], v[32:33], -v[102:103]
	v_add_f64 v[42:43], v[70:71], v[42:43]
	v_add_f64 v[34:35], v[34:35], -v[98:99]
	v_add_f64 v[22:23], v[22:23], -v[100:101]
	v_fma_f64 v[60:61], v[105:106], -0.5, v[60:61]
	v_fma_f64 v[38:39], v[72:73], -0.5, v[66:67]
	;; [unrolled: 1-line block ×4, first 2 shown]
	v_add_f64 v[66:67], v[68:69], v[80:81]
	v_fma_f64 v[72:73], v[115:116], -0.5, v[74:75]
	v_add_f64 v[26:27], v[64:65], v[26:27]
	v_fma_f64 v[70:71], v[94:95], -0.5, v[70:71]
	v_add_f64 v[10:11], v[10:11], -v[18:19]
	v_add_f64 v[16:17], v[16:17], -v[24:25]
	v_fma_f64 v[18:19], v[91:92], -0.5, v[68:69]
	v_add_nc_u32_e32 v105, 0x1000, v164
	v_fma_f64 v[24:25], v[36:37], -0.5, v[64:65]
	v_add_f64 v[64:65], v[44:45], v[12:13]
	v_fma_f64 v[12:13], v[117:118], -0.5, v[56:57]
	v_add_nc_u32_e32 v108, 0x1400, v164
	v_add_nc_u32_e32 v106, 0x1800, v164
	v_add_nc_u32_e32 v109, 0x2800, v164
	v_add_nc_u32_e32 v107, 0x800, v164
	v_add_nc_u32_e32 v175, 0xc00, v164
	v_add_nc_u32_e32 v174, 0x2000, v164
	v_add_f64 v[68:69], v[89:90], v[48:49]
	v_fma_f64 v[93:94], v[28:29], s[6:7], v[60:61]
	v_fma_f64 v[95:96], v[28:29], s[4:5], v[60:61]
	v_add_nc_u32_e32 v60, 0x2400, v164
	v_add_nc_u32_e32 v61, 0x1c00, v164
	v_add_f64 v[74:75], v[54:55], v[50:51]
	v_add_f64 v[80:81], v[46:47], v[14:15]
	v_fma_f64 v[89:90], v[86:87], s[6:7], v[38:39]
	v_fma_f64 v[86:87], v[86:87], s[4:5], v[38:39]
	;; [unrolled: 1-line block ×6, first 2 shown]
	v_add_f64 v[101:102], v[40:41], v[20:21]
	v_fma_f64 v[115:116], v[32:33], s[6:7], v[72:73]
	v_fma_f64 v[72:73], v[32:33], s[4:5], v[72:73]
	v_add_f64 v[117:118], v[42:43], v[8:9]
	v_fma_f64 v[119:120], v[34:35], s[6:7], v[70:71]
	v_fma_f64 v[70:71], v[34:35], s[4:5], v[70:71]
	;; [unrolled: 3-line block ×4, first 2 shown]
	v_fma_f64 v[14:15], v[16:17], s[6:7], v[12:13]
	v_fma_f64 v[8:9], v[16:17], s[4:5], v[12:13]
	s_waitcnt lgkmcnt(0)
	s_barrier
	buffer_gl0_inv
	ds_read_b64 v[44:45], v164
	ds_read2_b64 v[40:43], v105 offset0:118 offset1:181
	ds_read2_b64 v[2:5], v106 offset0:114 offset1:177
	;; [unrolled: 1-line block ×5, first 2 shown]
	ds_read_b64 v[46:47], v167
	ds_read2_b64 v[32:35], v108 offset0:116 offset1:179
	ds_read2_b64 v[24:27], v109 offset0:106 offset1:169
	ds_read_b64 v[50:51], v168
	ds_read2_b64 v[20:23], v175 offset0:120 offset1:183
	ds_read2_b64 v[10:13], v174 offset0:110 offset1:173
	ds_read_b64 v[58:59], v170
	ds_read_b64 v[48:49], v169
	;; [unrolled: 1-line block ×3, first 2 shown]
	ds_read_b64 v[54:55], v164 offset:12096
	s_waitcnt lgkmcnt(0)
	s_barrier
	buffer_gl0_inv
	ds_write2_b64 v112, v[68:69], v[89:90] offset1:3
	ds_write_b64 v112, v[86:87] offset:48
	ds_write2_b64 v113, v[74:75], v[91:92] offset1:3
	ds_write_b64 v113, v[62:63] offset:48
	;; [unrolled: 2-line block ×8, first 2 shown]
	s_and_saveexec_b32 s1, s0
	s_cbranch_execz .LBB0_27
; %bb.26:
	v_add_f64 v[56:57], v[56:57], v[76:77]
	v_mov_b32_e32 v62, 3
	v_lshlrev_b32_sdwa v63, v62, v110 dst_sel:DWORD dst_unused:UNUSED_PAD src0_sel:DWORD src1_sel:WORD_0
	v_lshlrev_b32_sdwa v62, v62, v111 dst_sel:DWORD dst_unused:UNUSED_PAD src0_sel:DWORD src1_sel:WORD_0
	v_add3_u32 v62, 0, v63, v62
	v_add_f64 v[56:57], v[56:57], v[78:79]
	ds_write2_b64 v62, v[56:57], v[14:15] offset1:3
	ds_write_b64 v62, v[8:9] offset:48
.LBB0_27:
	s_or_b32 exec_lo, exec_lo, s1
	v_mul_lo_u16 v56, v104, 57
	v_mul_lo_u16 v57, v173, 57
	;; [unrolled: 1-line block ×3, first 2 shown]
	s_waitcnt lgkmcnt(0)
	s_barrier
	v_lshrrev_b16 v78, 9, v56
	v_lshrrev_b16 v79, 9, v57
	v_mov_b32_e32 v57, 6
	buffer_gl0_inv
	v_lshrrev_b16 v103, 9, v63
	v_mul_lo_u16 v56, v78, 9
	v_mul_lo_u16 v62, v79, 9
	v_mov_b32_e32 v63, 0xe38f
	v_mov_b32_e32 v128, 0x168
	;; [unrolled: 1-line block ×3, first 2 shown]
	v_sub_nc_u16 v88, v153, v56
	v_mul_lo_u16 v56, v172, 57
	v_sub_nc_u16 v89, v161, v62
	v_mul_u32_u24_sdwa v63, v165, v63 dst_sel:DWORD dst_unused:UNUSED_PAD src0_sel:WORD_0 src1_sel:DWORD
	v_mul_u32_u24_sdwa v129, v78, v128 dst_sel:DWORD dst_unused:UNUSED_PAD src0_sel:WORD_0 src1_sel:DWORD
	v_lshlrev_b32_sdwa v62, v57, v88 dst_sel:DWORD dst_unused:UNUSED_PAD src0_sel:DWORD src1_sel:BYTE_0
	v_lshrrev_b16 v102, 9, v56
	v_lshlrev_b32_sdwa v56, v57, v89 dst_sel:DWORD dst_unused:UNUSED_PAD src0_sel:DWORD src1_sel:BYTE_0
	v_lshrrev_b32_e32 v119, 19, v63
	v_mul_u32_u24_sdwa v134, v79, v128 dst_sel:DWORD dst_unused:UNUSED_PAD src0_sel:WORD_0 src1_sel:DWORD
	s_clause 0x2
	global_load_dwordx4 v[70:73], v62, s[8:9] offset:112
	global_load_dwordx4 v[74:77], v56, s[8:9] offset:112
	;; [unrolled: 1-line block ×3, first 2 shown]
	v_mul_lo_u16 v64, v102, 9
	s_clause 0x3
	global_load_dwordx4 v[84:87], v62, s[8:9] offset:128
	global_load_dwordx4 v[90:93], v62, s[8:9] offset:144
	;; [unrolled: 1-line block ×4, first 2 shown]
	v_mul_lo_u16 v62, v103, 9
	v_sub_nc_u16 v104, v162, v64
	v_mul_u32_u24_sdwa v154, v102, v128 dst_sel:DWORD dst_unused:UNUSED_PAD src0_sel:WORD_0 src1_sel:DWORD
	v_mul_u32_u24_sdwa v155, v103, v128 dst_sel:DWORD dst_unused:UNUSED_PAD src0_sel:WORD_0 src1_sel:DWORD
	v_lshlrev_b32_sdwa v88, v141, v88 dst_sel:DWORD dst_unused:UNUSED_PAD src0_sel:DWORD src1_sel:BYTE_0
	v_sub_nc_u16 v118, v163, v62
	v_mul_lo_u16 v62, v119, 9
	v_lshlrev_b32_sdwa v64, v57, v104 dst_sel:DWORD dst_unused:UNUSED_PAD src0_sel:DWORD src1_sel:BYTE_0
	s_clause 0x1
	global_load_dwordx4 v[110:113], v56, s[8:9] offset:144
	global_load_dwordx4 v[114:117], v64, s[8:9] offset:96
	v_lshlrev_b32_sdwa v56, v57, v118 dst_sel:DWORD dst_unused:UNUSED_PAD src0_sel:DWORD src1_sel:BYTE_0
	v_sub_nc_u16 v140, v165, v62
	s_clause 0x5
	global_load_dwordx4 v[120:123], v64, s[8:9] offset:112
	global_load_dwordx4 v[178:181], v64, s[8:9] offset:128
	;; [unrolled: 1-line block ×6, first 2 shown]
	v_lshlrev_b32_sdwa v57, v57, v140 dst_sel:DWORD dst_unused:UNUSED_PAD src0_sel:DWORD src1_sel:WORD_0
	s_clause 0x4
	global_load_dwordx4 v[198:201], v56, s[8:9] offset:144
	global_load_dwordx4 v[202:205], v57, s[8:9] offset:96
	;; [unrolled: 1-line block ×5, first 2 shown]
	ds_read_b64 v[66:67], v164
	ds_read2_b64 v[124:127], v105 offset0:118 offset1:181
	ds_read2_b64 v[218:221], v106 offset0:114 offset1:177
	;; [unrolled: 1-line block ×7, first 2 shown]
	ds_read_b64 v[62:63], v168
	ds_read2_b64 v[238:241], v175 offset0:120 offset1:183
	ds_read2_b64 v[242:245], v174 offset0:110 offset1:173
	ds_read_b64 v[56:57], v170
	ds_read_b64 v[60:61], v169
	;; [unrolled: 1-line block ×4, first 2 shown]
	ds_read_b64 v[246:247], v164 offset:12096
	v_mul_u32_u24_e32 v156, 0x168, v119
	v_lshlrev_b32_sdwa v157, v141, v118 dst_sel:DWORD dst_unused:UNUSED_PAD src0_sel:DWORD src1_sel:BYTE_0
	v_add3_u32 v177, 0, v129, v88
	v_lshlrev_b32_sdwa v89, v141, v89 dst_sel:DWORD dst_unused:UNUSED_PAD src0_sel:DWORD src1_sel:BYTE_0
	s_mov_b32 s10, 0x134454ff
	s_mov_b32 s11, 0x3fee6f0e
	;; [unrolled: 1-line block ×4, first 2 shown]
	v_add3_u32 v176, 0, v134, v89
	s_mov_b32 s6, 0x4755a5e
	s_mov_b32 s7, 0x3fe2cf23
	s_mov_b32 s17, 0xbfe2cf23
	s_mov_b32 s16, s6
	s_mov_b32 s4, 0x372fe950
	s_mov_b32 s5, 0x3fd3c6ef
	v_lshlrev_b32_sdwa v104, v141, v104 dst_sel:DWORD dst_unused:UNUSED_PAD src0_sel:DWORD src1_sel:BYTE_0
	s_waitcnt vmcnt(0) lgkmcnt(0)
	s_barrier
	buffer_gl0_inv
	v_cmp_gt_u32_e64 s0, 36, v153
	v_mul_f64 v[78:79], v[124:125], v[72:73]
	v_mul_f64 v[72:73], v[40:41], v[72:73]
	v_mul_f64 v[102:103], v[126:127], v[76:77]
	v_mul_f64 v[118:119], v[56:57], v[82:83]
	v_mul_f64 v[82:83], v[58:59], v[82:83]
	v_mul_f64 v[128:129], v[220:221], v[86:87]
	v_mul_f64 v[86:87], v[4:5], v[86:87]
	v_mul_f64 v[136:137], v[130:131], v[92:93]
	v_mul_f64 v[142:143], v[222:223], v[96:97]
	v_mul_f64 v[144:145], v[226:227], v[100:101]
	v_mul_f64 v[100:101], v[16:17], v[100:101]
	v_mul_f64 v[76:77], v[42:43], v[76:77]
	v_mul_f64 v[92:93], v[36:37], v[92:93]
	v_mul_f64 v[96:97], v[28:29], v[96:97]
	v_mul_f64 v[248:249], v[132:133], v[112:113]
	v_mul_f64 v[250:251], v[224:225], v[116:117]
	v_mul_f64 v[112:113], v[38:39], v[112:113]
	v_mul_f64 v[116:117], v[30:31], v[116:117]
	v_mul_f64 v[252:253], v[230:231], v[122:123]
	v_fma_f64 v[88:89], v[124:125], v[70:71], v[72:73]
	v_mul_f64 v[72:73], v[228:229], v[180:181]
	v_fma_f64 v[134:135], v[40:41], v[70:71], -v[78:79]
	v_mul_f64 v[40:41], v[32:33], v[122:123]
	v_fma_f64 v[122:123], v[42:43], v[74:75], -v[102:103]
	v_mul_f64 v[102:103], v[234:235], v[184:185]
	v_mul_f64 v[254:255], v[232:233], v[192:193]
	v_fma_f64 v[138:139], v[56:57], v[80:81], v[82:83]
	v_mul_f64 v[56:57], v[242:243], v[196:197]
	v_mul_f64 v[42:43], v[18:19], v[180:181]
	;; [unrolled: 1-line block ×4, first 2 shown]
	v_fma_f64 v[146:147], v[58:59], v[80:81], -v[118:119]
	v_mul_f64 v[58:59], v[34:35], v[192:193]
	v_mul_f64 v[192:193], v[10:11], v[196:197]
	;; [unrolled: 1-line block ×3, first 2 shown]
	v_fma_f64 v[148:149], v[4:5], v[84:85], -v[128:129]
	v_fma_f64 v[80:81], v[220:221], v[84:85], v[86:87]
	v_mul_f64 v[4:5], v[26:27], v[200:201]
	v_mul_f64 v[86:87], v[218:219], v[208:209]
	;; [unrolled: 1-line block ×4, first 2 shown]
	v_fma_f64 v[150:151], v[36:37], v[90:91], -v[136:137]
	v_fma_f64 v[136:137], v[28:29], v[94:95], -v[142:143]
	;; [unrolled: 1-line block ×3, first 2 shown]
	v_fma_f64 v[82:83], v[226:227], v[98:99], v[100:101]
	v_mul_f64 v[98:99], v[246:247], v[216:217]
	v_mul_f64 v[28:29], v[2:3], v[208:209]
	;; [unrolled: 1-line block ×3, first 2 shown]
	v_fma_f64 v[144:145], v[38:39], v[110:111], -v[248:249]
	v_fma_f64 v[78:79], v[126:127], v[74:75], v[76:77]
	v_fma_f64 v[126:127], v[30:31], v[114:115], -v[250:251]
	v_fma_f64 v[124:125], v[32:33], v[120:121], -v[252:253]
	;; [unrolled: 1-line block ×3, first 2 shown]
	v_fma_f64 v[70:71], v[132:133], v[110:111], v[112:113]
	v_fma_f64 v[132:133], v[24:25], v[182:183], -v[102:103]
	v_mul_f64 v[188:189], v[20:21], v[188:189]
	v_fma_f64 v[118:119], v[224:225], v[114:115], v[116:117]
	v_fma_f64 v[114:115], v[34:35], v[190:191], -v[254:255]
	v_fma_f64 v[116:117], v[10:11], v[194:195], -v[56:57]
	v_fma_f64 v[74:75], v[130:131], v[90:91], v[92:93]
	v_fma_f64 v[92:93], v[230:231], v[120:121], v[40:41]
	v_fma_f64 v[112:113], v[20:21], v[186:187], -v[184:185]
	v_fma_f64 v[120:121], v[26:27], v[198:199], -v[196:197]
	v_fma_f64 v[130:131], v[222:223], v[94:95], v[96:97]
	v_mul_f64 v[38:39], v[54:55], v[216:217]
	v_fma_f64 v[96:97], v[2:3], v[206:207], -v[86:87]
	v_fma_f64 v[100:101], v[12:13], v[210:211], -v[200:201]
	v_mul_f64 v[16:17], v[12:13], v[212:213]
	v_fma_f64 v[94:95], v[22:23], v[202:203], -v[84:85]
	v_fma_f64 v[102:103], v[54:55], v[214:215], -v[98:99]
	v_fma_f64 v[10:11], v[236:237], v[198:199], v[4:5]
	v_add_f64 v[4:5], v[134:135], v[148:149]
	v_fma_f64 v[86:87], v[218:219], v[206:207], v[28:29]
	v_add_f64 v[24:25], v[146:147], -v[134:135]
	v_add_f64 v[26:27], v[150:151], -v[148:149]
	v_add_f64 v[28:29], v[146:147], v[150:151]
	v_fma_f64 v[84:85], v[240:241], v[202:203], v[36:37]
	v_add_f64 v[30:31], v[134:135], -v[146:147]
	v_add_f64 v[32:33], v[148:149], -v[150:151]
	v_add_f64 v[34:35], v[52:53], v[136:137]
	v_add_f64 v[36:37], v[122:123], v[142:143]
	;; [unrolled: 1-line block ×3, first 2 shown]
	v_fma_f64 v[76:77], v[228:229], v[178:179], v[42:43]
	v_fma_f64 v[72:73], v[234:235], v[182:183], v[180:181]
	v_add_f64 v[178:179], v[46:47], v[126:127]
	v_add_f64 v[180:181], v[124:125], v[128:129]
	v_fma_f64 v[90:91], v[232:233], v[190:191], v[58:59]
	v_add_f64 v[190:191], v[126:127], v[132:133]
	v_fma_f64 v[110:111], v[238:239], v[186:187], v[188:189]
	v_add_f64 v[42:43], v[136:137], -v[122:123]
	v_add_f64 v[54:55], v[144:145], -v[142:143]
	;; [unrolled: 1-line block ×4, first 2 shown]
	v_add_f64 v[198:199], v[114:115], v[116:117]
	v_fma_f64 v[20:21], v[242:243], v[194:195], v[192:193]
	v_add_f64 v[208:209], v[112:113], v[120:121]
	v_fma_f64 v[12:13], v[246:247], v[214:215], v[38:39]
	v_add_f64 v[186:187], v[126:127], -v[124:125]
	v_add_f64 v[188:189], v[132:133], -v[128:129]
	v_add_f64 v[216:217], v[96:97], v[100:101]
	v_fma_f64 v[22:23], v[244:245], v[210:211], v[16:17]
	v_add_f64 v[226:227], v[94:95], v[102:103]
	v_add_f64 v[2:3], v[44:45], v[146:147]
	v_add_f64 v[16:17], v[138:139], -v[74:75]
	v_add_f64 v[192:193], v[124:125], -v[126:127]
	;; [unrolled: 1-line block ×3, first 2 shown]
	v_fma_f64 v[4:5], v[4:5], -0.5, v[44:45]
	v_add_f64 v[18:19], v[88:89], -v[80:81]
	v_add_f64 v[196:197], v[50:51], v[112:113]
	v_add_f64 v[24:25], v[24:25], v[26:27]
	v_fma_f64 v[26:27], v[28:29], -0.5, v[44:45]
	v_add_f64 v[38:39], v[130:131], -v[70:71]
	v_add_f64 v[28:29], v[30:31], v[32:33]
	v_add_f64 v[30:31], v[34:35], v[122:123]
	v_fma_f64 v[32:33], v[36:37], -0.5, v[52:53]
	v_add_f64 v[40:41], v[78:79], -v[82:83]
	v_add_f64 v[204:205], v[112:113], -v[114:115]
	;; [unrolled: 1-line block ×3, first 2 shown]
	v_fma_f64 v[36:37], v[56:57], -0.5, v[52:53]
	v_add_f64 v[182:183], v[118:119], -v[72:73]
	v_add_f64 v[44:45], v[178:179], v[124:125]
	v_fma_f64 v[52:53], v[180:181], -0.5, v[46:47]
	v_add_f64 v[184:185], v[92:93], -v[76:77]
	v_fma_f64 v[46:47], v[190:191], -0.5, v[46:47]
	v_add_f64 v[200:201], v[110:111], -v[10:11]
	v_add_f64 v[210:211], v[114:115], -v[112:113]
	;; [unrolled: 1-line block ×3, first 2 shown]
	v_add_f64 v[34:35], v[42:43], v[54:55]
	v_add_f64 v[42:43], v[58:59], v[98:99]
	v_fma_f64 v[98:99], v[198:199], -0.5, v[50:51]
	v_add_f64 v[202:203], v[90:91], -v[20:21]
	v_fma_f64 v[50:51], v[208:209], -0.5, v[50:51]
	v_add_f64 v[214:215], v[48:49], v[94:95]
	v_add_f64 v[218:219], v[84:85], -v[12:13]
	v_add_f64 v[54:55], v[186:187], v[188:189]
	v_fma_f64 v[188:189], v[216:217], -0.5, v[48:49]
	v_add_f64 v[220:221], v[86:87], -v[22:23]
	v_fma_f64 v[48:49], v[226:227], -0.5, v[48:49]
	v_add_f64 v[2:3], v[2:3], v[134:135]
	v_add_f64 v[56:57], v[192:193], v[194:195]
	v_fma_f64 v[194:195], v[16:17], s[10:11], v[4:5]
	v_add_f64 v[58:59], v[196:197], v[114:115]
	v_fma_f64 v[4:5], v[16:17], s[14:15], v[4:5]
	v_fma_f64 v[196:197], v[18:19], s[14:15], v[26:27]
	v_fma_f64 v[26:27], v[18:19], s[10:11], v[26:27]
	v_add_f64 v[30:31], v[30:31], v[142:143]
	v_fma_f64 v[198:199], v[38:39], s[10:11], v[32:33]
	v_add_f64 v[178:179], v[204:205], v[206:207]
	v_fma_f64 v[32:33], v[38:39], s[14:15], v[32:33]
	v_fma_f64 v[204:205], v[40:41], s[14:15], v[36:37]
	;; [unrolled: 1-line block ×3, first 2 shown]
	v_add_f64 v[44:45], v[44:45], v[128:129]
	v_fma_f64 v[206:207], v[182:183], s[10:11], v[52:53]
	v_fma_f64 v[52:53], v[182:183], s[14:15], v[52:53]
	;; [unrolled: 1-line block ×4, first 2 shown]
	v_add_f64 v[180:181], v[210:211], v[212:213]
	v_fma_f64 v[210:211], v[200:201], s[10:11], v[98:99]
	v_fma_f64 v[212:213], v[202:203], s[14:15], v[50:51]
	;; [unrolled: 1-line block ×4, first 2 shown]
	v_add_f64 v[222:223], v[94:95], -v[96:97]
	v_add_f64 v[224:225], v[102:103], -v[100:101]
	v_add_f64 v[186:187], v[214:215], v[96:97]
	v_fma_f64 v[214:215], v[218:219], s[10:11], v[188:189]
	v_add_f64 v[228:229], v[96:97], -v[94:95]
	v_add_f64 v[230:231], v[100:101], -v[102:103]
	v_fma_f64 v[216:217], v[220:221], s[14:15], v[48:49]
	v_fma_f64 v[48:49], v[220:221], s[10:11], v[48:49]
	v_fma_f64 v[188:189], v[218:219], s[14:15], v[188:189]
	v_add_f64 v[2:3], v[2:3], v[148:149]
	v_fma_f64 v[194:195], v[18:19], s[6:7], v[194:195]
	v_fma_f64 v[4:5], v[18:19], s[16:17], v[4:5]
	v_fma_f64 v[18:19], v[16:17], s[6:7], v[196:197]
	v_fma_f64 v[16:17], v[16:17], s[16:17], v[26:27]
	v_add_f64 v[26:27], v[30:31], v[144:145]
	v_fma_f64 v[30:31], v[40:41], s[6:7], v[198:199]
	;; [unrolled: 5-line block ×4, first 2 shown]
	v_fma_f64 v[196:197], v[200:201], s[6:7], v[212:213]
	v_fma_f64 v[50:51], v[200:201], s[16:17], v[50:51]
	;; [unrolled: 1-line block ×3, first 2 shown]
	v_add_f64 v[190:191], v[222:223], v[224:225]
	v_add_f64 v[186:187], v[186:187], v[100:101]
	v_fma_f64 v[198:199], v[220:221], s[6:7], v[214:215]
	v_add_f64 v[192:193], v[228:229], v[230:231]
	v_fma_f64 v[200:201], v[218:219], s[6:7], v[216:217]
	v_fma_f64 v[48:49], v[218:219], s[16:17], v[48:49]
	;; [unrolled: 1-line block ×3, first 2 shown]
	v_add_f64 v[2:3], v[2:3], v[150:151]
	v_fma_f64 v[194:195], v[24:25], s[4:5], v[194:195]
	v_fma_f64 v[202:203], v[28:29], s[4:5], v[18:19]
	;; [unrolled: 1-line block ×12, first 2 shown]
	v_add_f64 v[58:59], v[58:59], v[120:121]
	v_fma_f64 v[52:53], v[178:179], s[4:5], v[182:183]
	v_fma_f64 v[56:57], v[180:181], s[4:5], v[196:197]
	;; [unrolled: 1-line block ×4, first 2 shown]
	v_add_f64 v[186:187], v[186:187], v[102:103]
	v_fma_f64 v[98:99], v[190:191], s[4:5], v[198:199]
	v_fma_f64 v[16:17], v[192:193], s[4:5], v[200:201]
	;; [unrolled: 1-line block ×4, first 2 shown]
	v_lshlrev_b32_sdwa v48, v141, v140 dst_sel:DWORD dst_unused:UNUSED_PAD src0_sel:DWORD src1_sel:WORD_0
	v_add3_u32 v179, 0, v154, v104
	v_add3_u32 v178, 0, v155, v157
	;; [unrolled: 1-line block ×3, first 2 shown]
	ds_write2_b64 v177, v[2:3], v[194:195] offset1:9
	ds_write2_b64 v177, v[202:203], v[28:29] offset0:18 offset1:27
	ds_write_b64 v177, v[24:25] offset:288
	ds_write2_b64 v176, v[26:27], v[30:31] offset1:9
	ds_write2_b64 v176, v[34:35], v[36:37] offset0:18 offset1:27
	ds_write_b64 v176, v[32:33] offset:288
	;; [unrolled: 3-line block ×5, first 2 shown]
	s_waitcnt lgkmcnt(0)
	s_barrier
	buffer_gl0_inv
	ds_read2_b64 v[24:27], v164 offset1:225
	ds_read2_b64 v[52:55], v175 offset0:66 offset1:129
	ds_read2_b64 v[40:43], v105 offset0:64 offset1:163
	;; [unrolled: 1-line block ×8, first 2 shown]
	ds_read_b64 v[104:105], v167
	ds_read_b64 v[106:107], v166
	ds_read_b64 v[108:109], v164 offset:11808
	s_and_saveexec_b32 s1, s0
	s_cbranch_execz .LBB0_29
; %bb.28:
	v_add_nc_u32_e32 v0, 0xc00, v164
	v_add_nc_u32_e32 v1, 0x1b00, v164
	;; [unrolled: 1-line block ×3, first 2 shown]
	ds_read_b64 v[98:99], v168
	ds_read2_b64 v[16:19], v0 offset0:30 offset1:255
	ds_read2_b64 v[4:7], v1 offset1:225
	ds_read2_b64 v[0:3], v2 offset0:2 offset1:227
.LBB0_29:
	s_or_b32 exec_lo, exec_lo, s1
	v_add_f64 v[174:175], v[88:89], v[80:81]
	v_add_f64 v[181:182], v[66:67], v[138:139]
	v_add_f64 v[146:147], v[146:147], -v[150:151]
	v_add_f64 v[183:184], v[138:139], v[74:75]
	v_add_f64 v[189:190], v[78:79], v[82:83]
	;; [unrolled: 1-line block ×3, first 2 shown]
	v_add_f64 v[126:127], v[126:127], -v[132:133]
	v_add_f64 v[134:135], v[134:135], -v[148:149]
	;; [unrolled: 1-line block ×4, first 2 shown]
	v_add_f64 v[187:188], v[68:69], v[130:131]
	v_add_f64 v[197:198], v[92:93], v[76:77]
	;; [unrolled: 1-line block ×3, first 2 shown]
	v_add_f64 v[136:137], v[136:137], -v[144:145]
	v_add_f64 v[122:123], v[122:123], -v[142:143]
	;; [unrolled: 1-line block ×4, first 2 shown]
	v_add_f64 v[205:206], v[90:91], v[20:21]
	v_add_f64 v[207:208], v[110:111], v[10:11]
	v_add_f64 v[138:139], v[88:89], -v[138:139]
	v_add_f64 v[185:186], v[80:81], -v[74:75]
	v_add_f64 v[209:210], v[86:87], v[22:23]
	v_fma_f64 v[132:133], v[174:175], -0.5, v[66:67]
	v_add_f64 v[88:89], v[181:182], v[88:89]
	v_add_f64 v[96:97], v[96:97], -v[100:101]
	v_fma_f64 v[66:67], v[183:184], -0.5, v[66:67]
	v_fma_f64 v[183:184], v[189:190], -0.5, v[68:69]
	;; [unrolled: 1-line block ×3, first 2 shown]
	v_add_f64 v[100:101], v[84:85], v[12:13]
	v_add_f64 v[130:131], v[78:79], -v[130:131]
	v_add_f64 v[195:196], v[64:65], v[118:119]
	v_add_f64 v[94:95], v[94:95], -v[102:103]
	v_add_f64 v[78:79], v[187:188], v[78:79]
	v_add_f64 v[102:103], v[148:149], v[150:151]
	v_fma_f64 v[148:149], v[197:198], -0.5, v[64:65]
	v_add_f64 v[124:125], v[124:125], -v[128:129]
	v_fma_f64 v[64:65], v[199:200], -0.5, v[64:65]
	v_add_f64 v[203:204], v[62:63], v[110:111]
	v_add_f64 v[112:113], v[112:113], -v[120:121]
	v_add_f64 v[189:190], v[60:61], v[84:85]
	v_add_f64 v[142:143], v[142:143], v[144:145]
	v_fma_f64 v[144:145], v[205:206], -0.5, v[62:63]
	v_add_f64 v[193:194], v[82:83], -v[70:71]
	v_add_f64 v[114:115], v[114:115], -v[116:117]
	v_fma_f64 v[191:192], v[146:147], s[14:15], v[132:133]
	v_fma_f64 v[132:133], v[146:147], s[10:11], v[132:133]
	v_fma_f64 v[62:63], v[207:208], -0.5, v[62:63]
	v_add_f64 v[138:139], v[138:139], v[185:186]
	v_fma_f64 v[150:151], v[209:210], -0.5, v[60:61]
	v_add_f64 v[80:81], v[88:89], v[80:81]
	v_fma_f64 v[88:89], v[134:135], s[10:11], v[66:67]
	v_fma_f64 v[185:186], v[136:137], s[14:15], v[183:184]
	;; [unrolled: 1-line block ×5, first 2 shown]
	v_fma_f64 v[60:61], v[100:101], -0.5, v[60:61]
	v_fma_f64 v[68:69], v[122:123], s[14:15], v[68:69]
	v_add_f64 v[128:129], v[118:119], -v[92:93]
	v_add_f64 v[174:175], v[72:73], -v[76:77]
	;; [unrolled: 1-line block ×3, first 2 shown]
	v_add_f64 v[92:93], v[195:196], v[92:93]
	v_add_f64 v[78:79], v[78:79], v[82:83]
	v_fma_f64 v[82:83], v[126:127], s[14:15], v[148:149]
	v_add_f64 v[201:202], v[76:77], -v[72:73]
	v_fma_f64 v[100:101], v[126:127], s[10:11], v[148:149]
	v_fma_f64 v[148:149], v[124:125], s[10:11], v[64:65]
	;; [unrolled: 1-line block ×5, first 2 shown]
	v_add_f64 v[116:117], v[110:111], -v[90:91]
	v_add_f64 v[120:121], v[10:11], -v[20:21]
	;; [unrolled: 1-line block ×3, first 2 shown]
	v_add_f64 v[90:91], v[203:204], v[90:91]
	v_add_f64 v[134:135], v[189:190], v[86:87]
	v_fma_f64 v[189:190], v[112:113], s[14:15], v[144:145]
	v_add_f64 v[181:182], v[20:21], -v[10:11]
	v_add_f64 v[130:131], v[130:131], v[193:194]
	v_fma_f64 v[193:194], v[114:115], s[10:11], v[62:63]
	v_fma_f64 v[62:63], v[114:115], s[14:15], v[62:63]
	;; [unrolled: 1-line block ×4, first 2 shown]
	v_add_f64 v[74:75], v[80:81], v[74:75]
	v_fma_f64 v[80:81], v[146:147], s[16:17], v[88:89]
	v_fma_f64 v[88:89], v[122:123], s[16:17], v[185:186]
	;; [unrolled: 1-line block ×3, first 2 shown]
	v_add_f64 v[185:186], v[12:13], -v[22:23]
	v_fma_f64 v[66:67], v[146:147], s[6:7], v[66:67]
	v_fma_f64 v[146:147], v[136:137], s[16:17], v[187:188]
	;; [unrolled: 1-line block ×4, first 2 shown]
	v_add_f64 v[132:133], v[84:85], -v[86:87]
	v_fma_f64 v[187:188], v[96:97], s[10:11], v[60:61]
	v_add_f64 v[84:85], v[86:87], -v[84:85]
	v_add_f64 v[86:87], v[22:23], -v[12:13]
	v_fma_f64 v[60:61], v[96:97], s[14:15], v[60:61]
	v_fma_f64 v[150:151], v[94:95], s[10:11], v[150:151]
	;; [unrolled: 1-line block ×3, first 2 shown]
	v_add_f64 v[76:77], v[92:93], v[76:77]
	v_fma_f64 v[82:83], v[124:125], s[16:17], v[82:83]
	v_add_f64 v[92:93], v[128:129], v[174:175]
	v_fma_f64 v[100:101], v[124:125], s[6:7], v[100:101]
	v_fma_f64 v[124:125], v[126:127], s[16:17], v[148:149]
	v_add_f64 v[118:119], v[118:119], v[201:202]
	v_fma_f64 v[64:65], v[126:127], s[6:7], v[64:65]
	v_add_f64 v[20:21], v[90:91], v[20:21]
	;; [unrolled: 2-line block ×4, first 2 shown]
	v_fma_f64 v[62:63], v[112:113], s[6:7], v[62:63]
	v_fma_f64 v[114:115], v[114:115], s[6:7], v[144:145]
	v_add_f64 v[22:23], v[134:135], v[22:23]
	v_fma_f64 v[112:113], v[96:97], s[16:17], v[195:196]
	v_add_f64 v[126:127], v[132:133], v[185:186]
	;; [unrolled: 2-line block ×3, first 2 shown]
	v_fma_f64 v[86:87], v[94:95], s[6:7], v[60:61]
	v_fma_f64 v[94:95], v[96:97], s[6:7], v[150:151]
	v_fma_f64 v[80:81], v[138:139], s[4:5], v[80:81]
	v_fma_f64 v[66:67], v[138:139], s[4:5], v[66:67]
	v_add_f64 v[70:71], v[78:79], v[70:71]
	v_fma_f64 v[78:79], v[142:143], s[4:5], v[88:89]
	v_fma_f64 v[88:89], v[142:143], s[4:5], v[122:123]
	v_fma_f64 v[122:123], v[130:131], s[4:5], v[146:147]
	v_fma_f64 v[68:69], v[130:131], s[4:5], v[68:69]
	v_add_f64 v[72:73], v[76:77], v[72:73]
	v_fma_f64 v[76:77], v[92:93], s[4:5], v[82:83]
	v_fma_f64 v[82:83], v[92:93], s[4:5], v[100:101]
	v_fma_f64 v[92:93], v[118:119], s[4:5], v[124:125]
	v_fma_f64 v[64:65], v[118:119], s[4:5], v[64:65]
	v_add_f64 v[10:11], v[20:21], v[10:11]
	v_fma_f64 v[20:21], v[116:117], s[4:5], v[90:91]
	v_fma_f64 v[100:101], v[110:111], s[4:5], v[120:121]
	v_fma_f64 v[110:111], v[110:111], s[4:5], v[62:63]
	v_fma_f64 v[90:91], v[116:117], s[4:5], v[114:115]
	v_add_f64 v[22:23], v[22:23], v[12:13]
	v_fma_f64 v[96:97], v[126:127], s[4:5], v[112:113]
	v_fma_f64 v[60:61], v[84:85], s[4:5], v[128:129]
	;; [unrolled: 1-line block ×4, first 2 shown]
	s_waitcnt lgkmcnt(0)
	s_barrier
	buffer_gl0_inv
	ds_write2_b64 v177, v[74:75], v[183:184] offset1:9
	ds_write2_b64 v177, v[80:81], v[66:67] offset0:18 offset1:27
	ds_write_b64 v177, v[102:103] offset:288
	ds_write2_b64 v176, v[70:71], v[78:79] offset1:9
	ds_write2_b64 v176, v[122:123], v[68:69] offset0:18 offset1:27
	ds_write_b64 v176, v[88:89] offset:288
	;; [unrolled: 3-line block ×5, first 2 shown]
	v_add_nc_u32_e32 v10, 0xc00, v164
	v_add_nc_u32_e32 v11, 0x1000, v164
	s_waitcnt lgkmcnt(0)
	s_barrier
	buffer_gl0_inv
	ds_read2_b64 v[20:23], v164 offset1:225
	ds_read2_b64 v[72:75], v10 offset0:66 offset1:129
	ds_read2_b64 v[64:67], v11 offset0:64 offset1:163
	v_add_nc_u32_e32 v11, 0x1800, v164
	v_add_nc_u32_e32 v76, 0x2000, v164
	v_add_nc_u32_e32 v77, 0x2800, v164
	v_add_nc_u32_e32 v78, 0x800, v164
	v_add_nc_u32_e32 v79, 0x1400, v164
	ds_read2_b64 v[88:91], v11 offset0:132 offset1:195
	ds_read2_b64 v[68:71], v76 offset0:2 offset1:101
	;; [unrolled: 1-line block ×6, first 2 shown]
	ds_read_b64 v[100:101], v167
	ds_read_b64 v[102:103], v166
	ds_read_b64 v[110:111], v164 offset:11808
	s_and_saveexec_b32 s1, s0
	s_cbranch_execz .LBB0_31
; %bb.30:
	v_add_nc_u32_e32 v8, 0x1b00, v164
	v_add_nc_u32_e32 v9, 0x2900, v164
	ds_read_b64 v[96:97], v168
	ds_read2_b64 v[60:63], v10 offset0:30 offset1:255
	ds_read2_b64 v[12:15], v8 offset1:225
	ds_read2_b64 v[8:11], v9 offset0:2 offset1:227
.LBB0_31:
	s_or_b32 exec_lo, exec_lo, s1
	v_mul_lo_u16 v114, 0x6d, v173
	v_mul_lo_u16 v115, 0x6d, v172
	v_subrev_nc_u32_e32 v112, 45, v153
	v_cmp_gt_u32_e64 s1, 45, v153
	v_mov_b32_e32 v113, 0
	v_lshrrev_b16 v120, 8, v114
	v_lshrrev_b16 v134, 8, v115
	v_mul_lo_u16 v124, 0x6d, v171
	v_cndmask_b32_e64 v139, v112, v153, s1
	v_mov_b32_e32 v142, 6
	v_sub_nc_u16 v114, v161, v120
	v_sub_nc_u16 v115, v162, v134
	v_lshrrev_b16 v140, 8, v124
	v_mul_i32_i24_e32 v112, 6, v139
	s_mov_b32 s14, 0x37e14327
	v_lshrrev_b16 v114, 1, v114
	v_lshrrev_b16 v122, 1, v115
	s_mov_b32 s22, 0xe976ee23
	v_lshlrev_b64 v[112:113], 4, v[112:113]
	s_mov_b32 s15, 0x3fe948f6
	v_and_b32_e32 v121, 0x7f, v114
	v_and_b32_e32 v135, 0x7f, v122
	s_mov_b32 s4, 0x36b3c0b5
	s_mov_b32 s23, 0xbfe11646
	v_add_co_u32 v128, s1, s8, v112
	v_add_nc_u16 v130, v121, v120
	v_add_co_ci_u32_e64 v129, s1, s9, v113, s1
	v_add_nc_u16 v138, v135, v134
	s_clause 0x1
	global_load_dwordx4 v[112:115], v[128:129], off offset:672
	global_load_dwordx4 v[116:119], v[128:129], off offset:688
	v_lshrrev_b16 v141, 5, v130
	s_clause 0x3
	global_load_dwordx4 v[120:123], v[128:129], off offset:704
	global_load_dwordx4 v[124:127], v[128:129], off offset:720
	;; [unrolled: 1-line block ×4, first 2 shown]
	v_sub_nc_u16 v128, v163, v140
	v_mul_lo_u16 v129, v141, 45
	v_lshrrev_b16 v154, 5, v138
	s_mov_b32 s6, 0x429ad128
	s_mov_b32 s5, 0x3fac98ee
	v_lshrrev_b16 v128, 1, v128
	v_sub_nc_u16 v155, v161, v129
	v_mul_lo_u16 v129, v154, 45
	s_mov_b32 s7, 0x3febfeb5
	s_mov_b32 s10, 0xaaaaaaaa
	v_and_b32_e32 v128, 0x7f, v128
	v_mul_u32_u24_sdwa v143, v155, v142 dst_sel:DWORD dst_unused:UNUSED_PAD src0_sel:BYTE_0 src1_sel:DWORD
	v_sub_nc_u16 v138, v162, v129
	s_mov_b32 s24, 0xb247c609
	s_mov_b32 s11, 0xbff2aaaa
	v_add_nc_u16 v128, v128, v140
	v_lshlrev_b32_e32 v129, 4, v143
	v_mul_u32_u24_sdwa v140, v138, v142 dst_sel:DWORD dst_unused:UNUSED_PAD src0_sel:BYTE_0 src1_sel:DWORD
	s_mov_b32 s16, 0x5476071b
	s_mov_b32 s25, 0x3fd5d0dc
	v_lshrrev_b16 v128, 5, v128
	global_load_dwordx4 v[142:145], v129, s[8:9] offset:688
	v_lshlrev_b32_e32 v140, 4, v140
	s_clause 0xa
	global_load_dwordx4 v[146:149], v129, s[8:9] offset:752
	global_load_dwordx4 v[171:174], v129, s[8:9] offset:672
	global_load_dwordx4 v[175:178], v129, s[8:9] offset:736
	global_load_dwordx4 v[179:182], v140, s[8:9] offset:688
	global_load_dwordx4 v[183:186], v140, s[8:9] offset:672
	global_load_dwordx4 v[187:190], v129, s[8:9] offset:704
	global_load_dwordx4 v[191:194], v140, s[8:9] offset:752
	global_load_dwordx4 v[195:198], v140, s[8:9] offset:736
	global_load_dwordx4 v[199:202], v129, s[8:9] offset:720
	global_load_dwordx4 v[203:206], v140, s[8:9] offset:704
	global_load_dwordx4 v[207:210], v140, s[8:9] offset:720
	v_mul_lo_u16 v128, v128, 45
	s_mov_b32 s17, 0x3fe77f67
	s_mov_b32 s21, 0xbfe77f67
	s_mov_b32 s27, 0xbfd5d0dc
	s_mov_b32 s20, s16
	v_sub_nc_u16 v128, v163, v128
	s_mov_b32 s26, s24
	s_mov_b32 s18, 0x37c3f68c
	;; [unrolled: 1-line block ×3, first 2 shown]
	v_cmp_lt_u32_e64 s1, 44, v153
	v_and_b32_e32 v156, 0xff, v128
	v_mov_b32_e32 v157, 3
	v_lshlrev_b32_e32 v139, 3, v139
	v_cndmask_b32_e64 v140, 0, 0x9d8, s1
	v_mul_u32_u24_e32 v128, 6, v156
	v_lshlrev_b32_sdwa v155, v157, v155 dst_sel:DWORD dst_unused:UNUSED_PAD src0_sel:DWORD src1_sel:BYTE_0
	v_lshlrev_b32_e32 v128, 4, v128
	s_clause 0x5
	global_load_dwordx4 v[211:214], v128, s[8:9] offset:672
	global_load_dwordx4 v[215:218], v128, s[8:9] offset:688
	;; [unrolled: 1-line block ×6, first 2 shown]
	s_waitcnt vmcnt(0) lgkmcnt(0)
	s_barrier
	buffer_gl0_inv
	v_mul_f64 v[128:129], v[22:23], v[114:115]
	v_mul_f64 v[114:115], v[26:27], v[114:115]
	;; [unrolled: 1-line block ×12, first 2 shown]
	v_mov_b32_e32 v126, 0x9d8
	v_mul_u32_u24_sdwa v141, v141, v126 dst_sel:DWORD dst_unused:UNUSED_PAD src0_sel:WORD_0 src1_sel:DWORD
	v_mul_u32_u24_sdwa v154, v154, v126 dst_sel:DWORD dst_unused:UNUSED_PAD src0_sel:WORD_0 src1_sel:DWORD
	v_fma_f64 v[26:27], v[26:27], v[112:113], -v[128:129]
	v_fma_f64 v[126:127], v[22:23], v[112:113], v[114:115]
	v_fma_f64 v[22:23], v[52:53], v[116:117], -v[150:151]
	v_fma_f64 v[128:129], v[72:73], v[116:117], v[118:119]
	;; [unrolled: 2-line block ×3, first 2 shown]
	v_fma_f64 v[66:67], v[36:37], v[124:125], -v[237:238]
	v_mul_f64 v[36:37], v[74:75], v[144:145]
	v_mul_f64 v[42:43], v[94:95], v[148:149]
	;; [unrolled: 1-line block ×4, first 2 shown]
	v_fma_f64 v[88:89], v[88:89], v[124:125], v[239:240]
	v_fma_f64 v[132:133], v[70:71], v[130:131], v[132:133]
	v_fma_f64 v[70:71], v[56:57], v[134:135], -v[243:244]
	v_fma_f64 v[136:137], v[92:93], v[134:135], v[136:137]
	v_mul_f64 v[122:123], v[86:87], v[185:186]
	v_mul_f64 v[124:125], v[64:65], v[181:182]
	;; [unrolled: 1-line block ×4, first 2 shown]
	v_fma_f64 v[30:31], v[30:31], v[130:131], -v[241:242]
	v_mul_f64 v[56:57], v[48:49], v[173:174]
	v_mul_f64 v[130:131], v[54:55], v[144:145]
	;; [unrolled: 1-line block ×9, first 2 shown]
	v_fma_f64 v[92:93], v[54:55], v[142:143], -v[36:37]
	v_fma_f64 v[114:115], v[58:59], v[146:147], -v[42:43]
	;; [unrolled: 1-line block ×4, first 2 shown]
	v_mul_f64 v[235:236], v[82:83], v[205:206]
	v_mul_f64 v[205:206], v[34:35], v[205:206]
	;; [unrolled: 1-line block ×6, first 2 shown]
	v_fma_f64 v[116:117], v[50:51], v[183:184], -v[122:123]
	v_fma_f64 v[122:123], v[40:41], v[179:180], -v[124:125]
	;; [unrolled: 1-line block ×4, first 2 shown]
	v_mul_f64 v[185:186], v[50:51], v[185:186]
	v_add_f64 v[40:41], v[26:27], v[70:71]
	v_add_f64 v[46:47], v[22:23], v[30:31]
	v_fma_f64 v[134:135], v[84:85], v[171:172], v[56:57]
	v_fma_f64 v[130:131], v[74:75], v[142:143], v[130:131]
	v_fma_f64 v[32:33], v[32:33], v[187:188], -v[144:145]
	v_fma_f64 v[80:81], v[80:81], v[187:188], v[173:174]
	v_fma_f64 v[74:75], v[38:39], v[199:200], -v[189:190]
	v_fma_f64 v[84:85], v[90:91], v[199:200], v[201:202]
	v_fma_f64 v[90:91], v[76:77], v[175:176], v[177:178]
	v_add_f64 v[38:39], v[118:119], v[114:115]
	v_add_f64 v[50:51], v[92:93], v[120:121]
	v_fma_f64 v[94:95], v[94:95], v[146:147], v[148:149]
	v_fma_f64 v[76:77], v[64:65], v[179:180], v[181:182]
	v_fma_f64 v[34:35], v[34:35], v[203:204], -v[235:236]
	v_fma_f64 v[64:65], v[82:83], v[203:204], v[205:206]
	v_fma_f64 v[78:79], v[78:79], v[195:196], v[42:43]
	v_fma_f64 v[28:29], v[28:29], v[207:208], -v[36:37]
	v_fma_f64 v[68:69], v[68:69], v[207:208], v[54:55]
	v_fma_f64 v[82:83], v[110:111], v[191:192], v[44:45]
	v_add_f64 v[42:43], v[116:117], v[108:109]
	v_add_f64 v[44:45], v[122:123], v[124:125]
	v_fma_f64 v[86:87], v[86:87], v[183:184], v[185:186]
	v_mul_f64 v[48:49], v[60:61], v[213:214]
	v_add_f64 v[52:53], v[72:73], v[66:67]
	v_add_f64 v[56:57], v[128:129], -v[132:133]
	v_add_f64 v[58:59], v[88:89], -v[112:113]
	v_add_f64 v[150:151], v[46:47], v[40:41]
	v_add_f64 v[110:111], v[126:127], -v[136:137]
	v_add_f64 v[171:172], v[32:33], v[74:75]
	v_add_f64 v[175:176], v[84:85], -v[80:81]
	v_add_f64 v[173:174], v[130:131], -v[90:91]
	v_mul_f64 v[54:55], v[16:17], v[213:214]
	v_add_f64 v[181:182], v[50:51], v[38:39]
	v_add_f64 v[179:180], v[134:135], -v[94:95]
	v_mul_f64 v[142:143], v[62:63], v[217:218]
	v_mul_f64 v[144:145], v[18:19], v[217:218]
	;; [unrolled: 1-line block ×3, first 2 shown]
	v_add_f64 v[183:184], v[76:77], -v[78:79]
	v_add_f64 v[185:186], v[34:35], v[28:29]
	v_add_f64 v[187:188], v[68:69], -v[64:65]
	v_mul_f64 v[148:149], v[4:5], v[221:222]
	v_mul_f64 v[177:178], v[14:15], v[225:226]
	v_add_f64 v[193:194], v[44:45], v[42:43]
	v_add_f64 v[191:192], v[86:87], -v[82:83]
	v_fma_f64 v[36:37], v[16:17], v[211:212], -v[48:49]
	v_add_f64 v[195:196], v[40:41], -v[52:53]
	v_add_f64 v[199:200], v[52:53], -v[46:47]
	v_add_f64 v[201:202], v[58:59], -v[56:57]
	v_add_f64 v[16:17], v[52:53], v[150:151]
	v_add_f64 v[203:204], v[56:57], -v[110:111]
	v_add_f64 v[48:49], v[38:39], -v[171:172]
	;; [unrolled: 1-line block ×4, first 2 shown]
	v_add_f64 v[56:57], v[58:59], v[56:57]
	v_add_f64 v[171:172], v[171:172], v[181:182]
	v_add_f64 v[213:214], v[173:174], -v[179:180]
	v_add_f64 v[40:41], v[46:47], -v[40:41]
	;; [unrolled: 1-line block ×3, first 2 shown]
	v_mul_f64 v[189:190], v[6:7], v[225:226]
	v_add_f64 v[38:39], v[50:51], -v[38:39]
	v_add_f64 v[46:47], v[42:43], -v[185:186]
	;; [unrolled: 1-line block ×3, first 2 shown]
	v_add_f64 v[50:51], v[175:176], v[173:174]
	v_add_f64 v[173:174], v[179:180], -v[175:176]
	v_add_f64 v[193:194], v[185:186], v[193:194]
	v_add_f64 v[217:218], v[183:184], -v[191:192]
	v_add_f64 v[185:186], v[185:186], -v[44:45]
	v_mul_f64 v[195:196], v[195:196], s[14:15]
	v_mul_f64 v[221:222], v[199:200], s[4:5]
	;; [unrolled: 1-line block ×3, first 2 shown]
	v_add_f64 v[24:25], v[24:25], v[16:17]
	v_mul_f64 v[225:226], v[203:204], s[6:7]
	v_add_f64 v[175:176], v[187:188], v[183:184]
	v_mul_f64 v[48:49], v[48:49], s[14:15]
	v_mul_f64 v[183:184], v[52:53], s[4:5]
	v_mul_f64 v[150:151], v[150:151], s[22:23]
	v_add_f64 v[106:107], v[106:107], v[171:172]
	v_add_f64 v[56:57], v[56:57], v[110:111]
	v_mul_f64 v[110:111], v[213:214], s[6:7]
	v_add_f64 v[187:188], v[191:192], -v[187:188]
	v_mul_f64 v[197:198], v[8:9], v[229:230]
	v_mul_f64 v[205:206], v[0:1], v[229:230]
	;; [unrolled: 1-line block ×4, first 2 shown]
	v_add_f64 v[42:43], v[44:45], -v[42:43]
	v_mul_f64 v[207:208], v[10:11], v[233:234]
	v_add_f64 v[104:105], v[104:105], v[193:194]
	v_mul_f64 v[44:45], v[217:218], s[6:7]
	v_mul_f64 v[229:230], v[185:186], s[4:5]
	;; [unrolled: 1-line block ×3, first 2 shown]
	v_fma_f64 v[199:200], v[199:200], s[4:5], v[195:196]
	v_fma_f64 v[233:234], v[58:59], s[24:25], v[201:202]
	;; [unrolled: 1-line block ×3, first 2 shown]
	v_fma_f64 v[221:222], v[40:41], s[16:17], -v[221:222]
	v_fma_f64 v[195:196], v[40:41], s[20:21], -v[195:196]
	;; [unrolled: 1-line block ×4, first 2 shown]
	v_add_f64 v[50:51], v[50:51], v[179:180]
	v_fma_f64 v[52:53], v[52:53], s[4:5], v[48:49]
	v_fma_f64 v[179:180], v[38:39], s[16:17], -v[183:184]
	v_fma_f64 v[183:184], v[173:174], s[24:25], v[150:151]
	v_fma_f64 v[150:151], v[213:214], s[6:7], -v[150:151]
	;; [unrolled: 2-line block ×3, first 2 shown]
	v_fma_f64 v[48:49], v[38:39], s[20:21], -v[48:49]
	v_add_f64 v[175:176], v[175:176], v[191:192]
	v_fma_f64 v[173:174], v[185:186], s[4:5], v[46:47]
	v_fma_f64 v[185:186], v[187:188], s[24:25], v[181:182]
	;; [unrolled: 1-line block ×3, first 2 shown]
	v_fma_f64 v[181:182], v[217:218], s[6:7], -v[181:182]
	v_fma_f64 v[187:188], v[187:188], s[26:27], -v[44:45]
	;; [unrolled: 1-line block ×4, first 2 shown]
	v_fma_f64 v[44:45], v[62:63], v[215:216], v[144:145]
	v_fma_f64 v[40:41], v[4:5], v[219:220], -v[146:147]
	v_fma_f64 v[4:5], v[56:57], s[18:19], v[233:234]
	v_add_f64 v[62:63], v[199:200], v[16:17]
	v_fma_f64 v[42:43], v[60:61], v[211:212], v[54:55]
	v_fma_f64 v[38:39], v[18:19], v[215:216], -v[142:143]
	v_fma_f64 v[18:19], v[56:57], s[18:19], v[201:202]
	v_fma_f64 v[60:61], v[56:57], s[18:19], v[58:59]
	v_add_f64 v[142:143], v[195:196], v[16:17]
	v_add_f64 v[16:17], v[221:222], v[16:17]
	v_fma_f64 v[144:145], v[50:51], s[18:19], v[183:184]
	v_fma_f64 v[146:147], v[50:51], s[18:19], v[150:151]
	v_add_f64 v[150:151], v[52:53], v[171:172]
	v_fma_f64 v[110:111], v[50:51], s[18:19], v[110:111]
	v_add_f64 v[183:184], v[48:49], v[171:172]
	v_add_f64 v[171:172], v[179:180], v[171:172]
	v_fma_f64 v[179:180], v[175:176], s[18:19], v[185:186]
	v_add_f64 v[173:174], v[173:174], v[191:192]
	v_fma_f64 v[181:182], v[175:176], s[18:19], v[181:182]
	v_fma_f64 v[175:176], v[175:176], s[18:19], v[187:188]
	v_add_f64 v[185:186], v[46:47], v[191:192]
	v_add_f64 v[187:188], v[193:194], v[191:192]
	v_fma_f64 v[48:49], v[12:13], v[219:220], v[148:149]
	v_fma_f64 v[46:47], v[6:7], v[223:224], -v[177:178]
	v_fma_f64 v[50:51], v[14:15], v[223:224], v[189:190]
	v_fma_f64 v[52:53], v[0:1], v[227:228], -v[197:198]
	;; [unrolled: 2-line block ×3, first 2 shown]
	v_fma_f64 v[58:59], v[10:11], v[231:232], v[209:210]
	v_add_f64 v[0:1], v[4:5], v[62:63]
	v_add_f64 v[2:3], v[60:61], v[142:143]
	v_add_f64 v[6:7], v[16:17], -v[18:19]
	v_add_f64 v[8:9], v[18:19], v[16:17]
	v_add_f64 v[10:11], v[142:143], -v[60:61]
	v_add_f64 v[4:5], v[62:63], -v[4:5]
	v_add_f64 v[12:13], v[144:145], v[150:151]
	v_add_f64 v[14:15], v[110:111], v[183:184]
	v_add_f64 v[16:17], v[171:172], -v[146:147]
	v_add_f64 v[18:19], v[146:147], v[171:172]
	v_add_f64 v[110:111], v[183:184], -v[110:111]
	v_add_f64 v[142:143], v[150:151], -v[144:145]
	;; [unrolled: 6-line block ×3, first 2 shown]
	v_lshlrev_b32_sdwa v60, v157, v138 dst_sel:DWORD dst_unused:UNUSED_PAD src0_sel:DWORD src1_sel:BYTE_0
	v_add3_u32 v63, 0, v140, v139
	v_add3_u32 v62, 0, v141, v155
	;; [unrolled: 1-line block ×3, first 2 shown]
	v_lshl_add_u32 v60, v156, 3, 0
	ds_write2_b64 v63, v[24:25], v[0:1] offset1:45
	ds_write2_b64 v63, v[2:3], v[6:7] offset0:90 offset1:135
	ds_write2_b64 v63, v[8:9], v[10:11] offset0:180 offset1:225
	ds_write_b64 v63, v[4:5] offset:2160
	ds_write2_b64 v62, v[106:107], v[12:13] offset1:45
	ds_write2_b64 v62, v[14:15], v[16:17] offset0:90 offset1:135
	ds_write2_b64 v62, v[18:19], v[110:111] offset0:180 offset1:225
	ds_write_b64 v62, v[142:143] offset:2160
	;; [unrolled: 4-line block ×3, first 2 shown]
	s_and_saveexec_b32 s1, s0
	s_cbranch_execz .LBB0_33
; %bb.32:
	v_add_f64 v[0:1], v[38:39], v[52:53]
	v_add_f64 v[2:3], v[36:37], v[54:55]
	v_add_f64 v[4:5], v[50:51], -v[48:49]
	v_add_f64 v[6:7], v[44:45], -v[56:57]
	v_add_f64 v[8:9], v[40:41], v[46:47]
	v_add_f64 v[10:11], v[42:43], -v[58:59]
	v_add_f64 v[12:13], v[0:1], v[2:3]
	v_add_f64 v[14:15], v[4:5], -v[6:7]
	v_add_f64 v[16:17], v[2:3], -v[8:9]
	v_add_f64 v[18:19], v[6:7], -v[10:11]
	v_add_f64 v[6:7], v[4:5], v[6:7]
	v_add_f64 v[4:5], v[10:11], -v[4:5]
	v_add_f64 v[12:13], v[8:9], v[12:13]
	v_add_f64 v[8:9], v[8:9], -v[0:1]
	v_add_f64 v[0:1], v[0:1], -v[2:3]
	v_mul_f64 v[2:3], v[14:15], s[22:23]
	v_mul_f64 v[14:15], v[16:17], s[14:15]
	;; [unrolled: 1-line block ×3, first 2 shown]
	v_add_f64 v[6:7], v[6:7], v[10:11]
	v_add_f64 v[24:25], v[98:99], v[12:13]
	v_mul_f64 v[98:99], v[8:9], s[4:5]
	v_fma_f64 v[10:11], v[4:5], s[24:25], v[2:3]
	v_fma_f64 v[8:9], v[8:9], s[4:5], v[14:15]
	v_fma_f64 v[104:105], v[0:1], s[20:21], -v[14:15]
	v_fma_f64 v[4:5], v[4:5], s[26:27], -v[16:17]
	;; [unrolled: 1-line block ×3, first 2 shown]
	v_fma_f64 v[12:13], v[12:13], s[10:11], v[24:25]
	v_fma_f64 v[0:1], v[0:1], s[16:17], -v[98:99]
	v_fma_f64 v[10:11], v[6:7], s[18:19], v[10:11]
	v_fma_f64 v[4:5], v[6:7], s[18:19], v[4:5]
	;; [unrolled: 1-line block ×3, first 2 shown]
	v_add_f64 v[8:9], v[8:9], v[12:13]
	v_add_f64 v[6:7], v[104:105], v[12:13]
	;; [unrolled: 1-line block ×4, first 2 shown]
	v_add_f64 v[12:13], v[6:7], -v[4:5]
	v_add_f64 v[14:15], v[0:1], -v[2:3]
	v_add_f64 v[4:5], v[4:5], v[6:7]
	v_add_f64 v[0:1], v[2:3], v[0:1]
	v_add_f64 v[2:3], v[8:9], -v[10:11]
	v_add_nc_u32_e32 v6, 0x2400, v60
	v_add_nc_u32_e32 v7, 0x2800, v60
	ds_write2_b64 v6, v[24:25], v[16:17] offset0:108 offset1:153
	ds_write2_b64 v7, v[4:5], v[14:15] offset0:70 offset1:115
	ds_write2_b64 v7, v[0:1], v[12:13] offset0:160 offset1:205
	ds_write_b64 v60, v[2:3] offset:12240
.LBB0_33:
	s_or_b32 exec_lo, exec_lo, s1
	v_add_f64 v[0:1], v[126:127], v[136:137]
	v_add_f64 v[2:3], v[128:129], v[132:133]
	;; [unrolled: 1-line block ×7, first 2 shown]
	v_add_f64 v[14:15], v[22:23], -v[30:31]
	v_add_f64 v[16:17], v[66:67], -v[72:73]
	;; [unrolled: 1-line block ×3, first 2 shown]
	v_add_f64 v[24:25], v[80:81], v[84:85]
	v_add_f64 v[26:27], v[92:93], -v[120:121]
	v_add_f64 v[30:31], v[74:75], -v[32:33]
	;; [unrolled: 1-line block ×4, first 2 shown]
	v_add_f64 v[64:65], v[64:65], v[68:69]
	v_add_f64 v[28:29], v[28:29], -v[34:35]
	v_add_f64 v[34:35], v[116:117], -v[108:109]
	v_add_nc_u32_e32 v122, 0x1c00, v164
	s_waitcnt lgkmcnt(0)
	s_barrier
	buffer_gl0_inv
	v_add_f64 v[22:23], v[2:3], v[0:1]
	v_add_f64 v[66:67], v[6:7], v[4:5]
	;; [unrolled: 1-line block ×3, first 2 shown]
	v_add_f64 v[72:73], v[0:1], -v[12:13]
	v_add_f64 v[74:75], v[12:13], -v[2:3]
	;; [unrolled: 1-line block ×8, first 2 shown]
	v_add_f64 v[14:15], v[16:17], v[14:15]
	v_add_f64 v[26:27], v[30:31], v[26:27]
	v_add_f64 v[84:85], v[28:29], -v[70:71]
	v_add_f64 v[86:87], v[70:71], -v[34:35]
	;; [unrolled: 1-line block ×3, first 2 shown]
	v_add_f64 v[70:71], v[28:29], v[70:71]
	v_add_f64 v[30:31], v[32:33], -v[30:31]
	v_add_f64 v[28:29], v[34:35], -v[28:29]
	v_add_f64 v[12:13], v[12:13], v[22:23]
	v_add_f64 v[22:23], v[4:5], -v[24:25]
	v_add_f64 v[24:25], v[24:25], v[66:67]
	;; [unrolled: 2-line block ×3, first 2 shown]
	v_add_f64 v[64:65], v[64:65], -v[10:11]
	v_mul_f64 v[72:73], v[72:73], s[14:15]
	v_mul_f64 v[88:89], v[74:75], s[4:5]
	v_add_f64 v[4:5], v[6:7], -v[4:5]
	v_mul_f64 v[6:7], v[76:77], s[22:23]
	v_mul_f64 v[76:77], v[78:79], s[6:7]
	;; [unrolled: 1-line block ×3, first 2 shown]
	v_add_f64 v[8:9], v[10:11], -v[8:9]
	v_mul_f64 v[10:11], v[2:3], s[6:7]
	v_add_f64 v[14:15], v[14:15], v[18:19]
	v_mul_f64 v[84:85], v[84:85], s[22:23]
	v_mul_f64 v[18:19], v[86:87], s[6:7]
	v_add_f64 v[26:27], v[26:27], v[32:33]
	v_add_f64 v[34:35], v[70:71], v[34:35]
	;; [unrolled: 1-line block ×3, first 2 shown]
	v_mul_f64 v[20:21], v[22:23], s[14:15]
	v_mul_f64 v[22:23], v[80:81], s[4:5]
	v_add_f64 v[92:93], v[102:103], v[24:25]
	v_mul_f64 v[66:67], v[66:67], s[14:15]
	v_add_f64 v[94:95], v[100:101], v[68:69]
	v_mul_f64 v[32:33], v[64:65], s[4:5]
	v_fma_f64 v[70:71], v[74:75], s[4:5], v[72:73]
	v_fma_f64 v[74:75], v[0:1], s[16:17], -v[88:89]
	v_fma_f64 v[0:1], v[0:1], s[20:21], -v[72:73]
	v_fma_f64 v[72:73], v[16:17], s[24:25], v[6:7]
	v_fma_f64 v[6:7], v[78:79], s[6:7], -v[6:7]
	v_fma_f64 v[16:17], v[16:17], s[26:27], -v[76:77]
	v_fma_f64 v[78:79], v[30:31], s[24:25], v[82:83]
	v_fma_f64 v[10:11], v[30:31], s[26:27], -v[10:11]
	v_fma_f64 v[30:31], v[28:29], s[24:25], v[84:85]
	v_fma_f64 v[18:19], v[28:29], s[26:27], -v[18:19]
	v_fma_f64 v[2:3], v[2:3], s[6:7], -v[82:83]
	v_fma_f64 v[12:13], v[12:13], s[10:11], v[90:91]
	v_fma_f64 v[76:77], v[80:81], s[4:5], v[20:21]
	v_fma_f64 v[22:23], v[4:5], s[16:17], -v[22:23]
	v_fma_f64 v[24:25], v[24:25], s[10:11], v[92:93]
	v_fma_f64 v[4:5], v[4:5], s[20:21], -v[20:21]
	v_fma_f64 v[20:21], v[64:65], s[4:5], v[66:67]
	v_fma_f64 v[28:29], v[68:69], s[10:11], v[94:95]
	v_fma_f64 v[64:65], v[86:87], s[6:7], -v[84:85]
	v_fma_f64 v[66:67], v[8:9], s[20:21], -v[66:67]
	;; [unrolled: 1-line block ×3, first 2 shown]
	v_fma_f64 v[32:33], v[14:15], s[18:19], v[72:73]
	v_fma_f64 v[72:73], v[14:15], s[18:19], v[6:7]
	;; [unrolled: 1-line block ×4, first 2 shown]
	v_add_nc_u32_e32 v86, 0x1000, v164
	v_add_nc_u32_e32 v87, 0x1800, v164
	v_fma_f64 v[18:19], v[34:35], s[18:19], v[18:19]
	v_fma_f64 v[82:83], v[26:27], s[18:19], v[2:3]
	;; [unrolled: 1-line block ×3, first 2 shown]
	ds_read_b64 v[68:69], v164
	v_add_f64 v[70:71], v[70:71], v[12:13]
	v_add_f64 v[80:81], v[0:1], v[12:13]
	;; [unrolled: 1-line block ×6, first 2 shown]
	v_fma_f64 v[24:25], v[34:35], s[18:19], v[30:31]
	v_add_f64 v[20:21], v[20:21], v[28:29]
	v_fma_f64 v[30:31], v[34:35], s[18:19], v[64:65]
	v_add_f64 v[34:35], v[66:67], v[28:29]
	v_add_f64 v[28:29], v[8:9], v[28:29]
	v_add_nc_u32_e32 v8, 0x2400, v164
	v_add_nc_u32_e32 v12, 0x800, v164
	ds_read2_b64 v[0:3], v86 offset0:118 offset1:181
	ds_read2_b64 v[4:7], v87 offset0:114 offset1:177
	ds_read2_b64 v[8:11], v8 offset0:108 offset1:171
	ds_read2_b64 v[12:15], v12 offset0:122 offset1:185
	v_add_f64 v[64:65], v[70:71], -v[32:33]
	v_add_f64 v[100:101], v[32:33], v[70:71]
	v_add_nc_u32_e32 v32, 0x2000, v164
	v_add_f64 v[66:67], v[80:81], -v[16:17]
	v_add_f64 v[86:87], v[72:73], v[74:75]
	v_add_f64 v[88:89], v[74:75], -v[72:73]
	v_add_f64 v[98:99], v[16:17], v[80:81]
	;; [unrolled: 2-line block ×3, first 2 shown]
	v_add_nc_u32_e32 v20, 0x1400, v164
	v_add_nc_u32_e32 v24, 0x2800, v164
	v_add_f64 v[114:115], v[30:31], v[28:29]
	v_add_f64 v[116:117], v[28:29], -v[30:31]
	v_add_nc_u32_e32 v28, 0xc00, v164
	v_add_f64 v[102:103], v[76:77], -v[78:79]
	v_add_f64 v[104:105], v[84:85], -v[26:27]
	v_add_f64 v[106:107], v[82:83], v[22:23]
	v_add_f64 v[82:83], v[22:23], -v[82:83]
	v_add_f64 v[84:85], v[26:27], v[84:85]
	v_add_f64 v[108:109], v[78:79], v[76:77]
	v_add_f64 v[112:113], v[34:35], -v[18:19]
	v_add_f64 v[118:119], v[18:19], v[34:35]
	ds_read2_b64 v[16:19], v122 offset0:112 offset1:175
	ds_read_b64 v[72:73], v167
	ds_read2_b64 v[20:23], v20 offset0:116 offset1:179
	ds_read2_b64 v[24:27], v24 offset0:106 offset1:169
	ds_read_b64 v[74:75], v168
	ds_read2_b64 v[28:31], v28 offset0:120 offset1:183
	ds_read_b64 v[78:79], v170
	ds_read_b64 v[76:77], v169
	;; [unrolled: 1-line block ×3, first 2 shown]
	ds_read_b64 v[80:81], v164 offset:12096
	ds_read2_b64 v[32:35], v32 offset0:110 offset1:173
	s_waitcnt lgkmcnt(0)
	s_barrier
	buffer_gl0_inv
	ds_write2_b64 v63, v[90:91], v[64:65] offset1:45
	ds_write2_b64 v63, v[66:67], v[86:87] offset0:90 offset1:135
	ds_write2_b64 v63, v[88:89], v[98:99] offset0:180 offset1:225
	ds_write_b64 v63, v[100:101] offset:2160
	ds_write2_b64 v62, v[92:93], v[102:103] offset1:45
	ds_write2_b64 v62, v[104:105], v[106:107] offset0:90 offset1:135
	ds_write2_b64 v62, v[82:83], v[84:85] offset0:180 offset1:225
	ds_write_b64 v62, v[108:109] offset:2160
	;; [unrolled: 4-line block ×3, first 2 shown]
	s_and_saveexec_b32 s1, s0
	s_cbranch_execz .LBB0_35
; %bb.34:
	v_add_f64 v[42:43], v[42:43], v[58:59]
	v_add_f64 v[44:45], v[44:45], v[56:57]
	;; [unrolled: 1-line block ×3, first 2 shown]
	v_add_f64 v[38:39], v[38:39], -v[52:53]
	v_add_f64 v[40:41], v[46:47], -v[40:41]
	;; [unrolled: 1-line block ×3, first 2 shown]
	s_mov_b32 s4, 0x37e14327
	s_mov_b32 s5, 0x3fe948f6
	;; [unrolled: 1-line block ×10, first 2 shown]
	v_add_f64 v[46:47], v[44:45], v[42:43]
	v_add_f64 v[50:51], v[42:43], -v[48:49]
	v_add_f64 v[52:53], v[48:49], -v[44:45]
	;; [unrolled: 1-line block ×5, first 2 shown]
	v_add_f64 v[38:39], v[40:41], v[38:39]
	v_add_f64 v[40:41], v[36:37], -v[40:41]
	v_add_f64 v[46:47], v[48:49], v[46:47]
	v_mul_f64 v[44:45], v[50:51], s[4:5]
	s_mov_b32 s4, 0x429ad128
	v_mul_f64 v[48:49], v[52:53], s[6:7]
	v_mul_f64 v[50:51], v[54:55], s[10:11]
	s_mov_b32 s5, 0x3febfeb5
	s_mov_b32 s10, 0xaaaaaaaa
	v_mul_f64 v[54:55], v[56:57], s[4:5]
	s_mov_b32 s11, 0xbff2aaaa
	v_add_f64 v[36:37], v[38:39], v[36:37]
	v_add_f64 v[58:59], v[96:97], v[46:47]
	v_fma_f64 v[38:39], v[52:53], s[6:7], v[44:45]
	v_fma_f64 v[48:49], v[42:43], s[14:15], -v[48:49]
	s_mov_b32 s15, 0xbfe77f67
	v_fma_f64 v[52:53], v[40:41], s[16:17], v[50:51]
	s_mov_b32 s17, 0xbfd5d0dc
	v_fma_f64 v[50:51], v[56:57], s[4:5], -v[50:51]
	v_fma_f64 v[40:41], v[40:41], s[16:17], -v[54:55]
	;; [unrolled: 1-line block ×3, first 2 shown]
	s_mov_b32 s4, 0x37c3f68c
	s_mov_b32 s5, 0x3fdc38aa
	v_fma_f64 v[46:47], v[46:47], s[10:11], v[58:59]
	v_fma_f64 v[44:45], v[36:37], s[4:5], v[52:53]
	;; [unrolled: 1-line block ×4, first 2 shown]
	v_add_f64 v[38:39], v[38:39], v[46:47]
	v_add_f64 v[40:41], v[42:43], v[46:47]
	;; [unrolled: 1-line block ×3, first 2 shown]
	v_add_f64 v[46:47], v[38:39], -v[44:45]
	v_add_f64 v[48:49], v[40:41], -v[36:37]
	v_add_f64 v[52:53], v[50:51], v[42:43]
	v_add_f64 v[42:43], v[42:43], -v[50:51]
	v_add_f64 v[36:37], v[36:37], v[40:41]
	v_add_f64 v[38:39], v[44:45], v[38:39]
	v_add_nc_u32_e32 v40, 0x2400, v60
	v_add_nc_u32_e32 v41, 0x2800, v60
	ds_write2_b64 v40, v[58:59], v[46:47] offset0:108 offset1:153
	ds_write2_b64 v41, v[48:49], v[52:53] offset0:70 offset1:115
	;; [unrolled: 1-line block ×3, first 2 shown]
	ds_write_b64 v60, v[38:39] offset:12240
.LBB0_35:
	s_or_b32 exec_lo, exec_lo, s1
	s_waitcnt lgkmcnt(0)
	s_barrier
	buffer_gl0_inv
	s_and_saveexec_b32 s0, vcc_lo
	s_cbranch_execz .LBB0_37
; %bb.36:
	v_lshlrev_b32_e32 v82, 2, v165
	v_mov_b32_e32 v83, 0
	v_add_nc_u32_e32 v132, 0x1800, v164
	v_add_nc_u32_e32 v136, 0xc00, v164
	;; [unrolled: 1-line block ×3, first 2 shown]
	v_mad_u64_u32 v[191:192], null, s2, v153, 0
	v_lshlrev_b64 v[36:37], 4, v[82:83]
	v_lshlrev_b32_e32 v82, 2, v163
	v_mad_u64_u32 v[193:194], null, s2, v159, 0
	v_add_nc_u32_e32 v141, 0x1400, v164
	v_add_nc_u32_e32 v154, 0x2800, v164
	v_add_co_u32 v38, vcc_lo, s8, v36
	v_add_co_ci_u32_e32 v39, vcc_lo, s9, v37, vcc_lo
	v_lshlrev_b64 v[36:37], 4, v[82:83]
	v_add_co_u32 v44, vcc_lo, 0x1380, v38
	v_add_co_ci_u32_e32 v45, vcc_lo, 0, v39, vcc_lo
	v_add_co_u32 v38, vcc_lo, 0x1000, v38
	v_add_co_ci_u32_e32 v39, vcc_lo, 0, v39, vcc_lo
	v_add_co_u32 v48, vcc_lo, s8, v36
	v_lshlrev_b32_e32 v82, 2, v162
	v_add_co_ci_u32_e32 v49, vcc_lo, s9, v37, vcc_lo
	v_add_co_u32 v46, vcc_lo, 0x1000, v48
	v_lshlrev_b64 v[84:85], 4, v[82:83]
	v_add_co_ci_u32_e32 v47, vcc_lo, 0, v49, vcc_lo
	v_add_co_u32 v60, vcc_lo, 0x1380, v48
	v_add_co_ci_u32_e32 v61, vcc_lo, 0, v49, vcc_lo
	v_add_co_u32 v86, vcc_lo, s8, v84
	v_lshlrev_b32_e32 v82, 2, v161
	v_add_co_ci_u32_e32 v87, vcc_lo, s9, v85, vcc_lo
	v_add_co_u32 v96, vcc_lo, 0x1380, v86
	v_lshlrev_b64 v[84:85], 4, v[82:83]
	v_add_co_ci_u32_e32 v97, vcc_lo, 0, v87, vcc_lo
	v_add_co_u32 v86, vcc_lo, 0x1000, v86
	v_add_co_ci_u32_e32 v87, vcc_lo, 0, v87, vcc_lo
	v_add_co_u32 v92, vcc_lo, s8, v84
	v_lshlrev_b32_e32 v82, 2, v153
	v_add_co_ci_u32_e32 v93, vcc_lo, s9, v85, vcc_lo
	s_clause 0x3
	global_load_dwordx4 v[36:39], v[38:39], off offset:896
	global_load_dwordx4 v[40:43], v[44:45], off offset:48
	;; [unrolled: 1-line block ×4, first 2 shown]
	v_add_co_u32 v100, vcc_lo, 0x1000, v92
	v_lshlrev_b64 v[82:83], 4, v[82:83]
	v_add_co_ci_u32_e32 v101, vcc_lo, 0, v93, vcc_lo
	v_add_co_u32 v112, vcc_lo, 0x1380, v92
	v_add_co_ci_u32_e32 v113, vcc_lo, 0, v93, vcc_lo
	v_add_co_u32 v116, vcc_lo, s8, v82
	v_add_co_ci_u32_e32 v117, vcc_lo, s9, v83, vcc_lo
	s_clause 0x3
	global_load_dwordx4 v[52:55], v[46:47], off offset:896
	global_load_dwordx4 v[56:59], v[60:61], off offset:48
	;; [unrolled: 1-line block ×4, first 2 shown]
	v_add_co_u32 v82, vcc_lo, 0x1380, v116
	v_add_co_ci_u32_e32 v83, vcc_lo, 0, v117, vcc_lo
	v_add_co_u32 v120, vcc_lo, 0x1000, v116
	v_add_co_ci_u32_e32 v121, vcc_lo, 0, v117, vcc_lo
	s_clause 0xb
	global_load_dwordx4 v[84:87], v[86:87], off offset:896
	global_load_dwordx4 v[88:91], v[96:97], off offset:48
	;; [unrolled: 1-line block ×12, first 2 shown]
	ds_read_b64 v[82:83], v170
	ds_read_b64 v[150:151], v169
	;; [unrolled: 1-line block ×3, first 2 shown]
	ds_read2_b64 v[132:135], v132 offset0:114 offset1:177
	ds_read2_b64 v[136:139], v136 offset0:120 offset1:183
	;; [unrolled: 1-line block ×3, first 2 shown]
	ds_read_b64 v[183:184], v167
	ds_read_b64 v[185:186], v166
	ds_read_b64 v[187:188], v164 offset:12096
	ds_read_b64 v[189:190], v164
	v_add_nc_u32_e32 v155, 0x800, v164
	v_add_nc_u32_e32 v156, 0x1c00, v164
	v_mad_u64_u32 v[195:196], null, s3, v153, v[192:193]
	v_add_nc_u32_e32 v157, 0x1000, v164
	v_add_nc_u32_e32 v177, 0x2400, v164
	ds_read2_b64 v[146:149], v141 offset0:116 offset1:179
	ds_read2_b64 v[161:164], v154 offset0:106 offset1:169
	;; [unrolled: 1-line block ×6, first 2 shown]
	s_mov_b32 s8, 0x134454ff
	s_mov_b32 s9, 0xbfee6f0e
	;; [unrolled: 1-line block ×10, first 2 shown]
	v_mov_b32_e32 v192, v195
	s_waitcnt vmcnt(19) lgkmcnt(11)
	v_mul_f64 v[198:199], v[36:37], v[138:139]
	s_waitcnt vmcnt(17) lgkmcnt(10)
	v_mul_f64 v[200:201], v[48:49], v[144:145]
	s_waitcnt vmcnt(16)
	v_mul_f64 v[196:197], v[64:65], v[132:133]
	s_waitcnt lgkmcnt(7)
	v_mul_f64 v[202:203], v[40:41], v[187:188]
	v_mul_f64 v[138:139], v[38:39], v[138:139]
	v_mul_f64 v[187:188], v[42:43], v[187:188]
	v_mul_f64 v[132:133], v[66:67], v[132:133]
	v_mul_f64 v[144:145], v[50:51], v[144:145]
	s_waitcnt vmcnt(15)
	v_mul_f64 v[206:207], v[52:53], v[136:137]
	s_waitcnt vmcnt(14) lgkmcnt(4)
	v_mul_f64 v[210:211], v[56:57], v[163:164]
	s_waitcnt vmcnt(13)
	v_mul_f64 v[208:209], v[44:45], v[142:143]
	s_waitcnt vmcnt(12)
	v_mul_f64 v[204:205], v[60:61], v[148:149]
	v_mul_f64 v[136:137], v[54:55], v[136:137]
	;; [unrolled: 1-line block ×5, first 2 shown]
	v_fma_f64 v[38:39], v[30:31], v[38:39], v[198:199]
	s_waitcnt vmcnt(9) lgkmcnt(2)
	v_mul_f64 v[216:217], v[92:93], v[171:172]
	s_waitcnt vmcnt(8)
	v_mul_f64 v[212:213], v[96:97], v[146:147]
	v_mul_f64 v[214:215], v[84:85], v[167:168]
	;; [unrolled: 1-line block ×5, first 2 shown]
	s_waitcnt vmcnt(4) lgkmcnt(1)
	v_mul_f64 v[220:221], v[112:113], v[175:176]
	v_mul_f64 v[222:223], v[100:101], v[165:166]
	;; [unrolled: 1-line block ×3, first 2 shown]
	s_waitcnt lgkmcnt(0)
	v_mul_f64 v[226:227], v[104:105], v[179:180]
	v_mul_f64 v[165:166], v[102:103], v[165:166]
	;; [unrolled: 1-line block ×5, first 2 shown]
	s_waitcnt vmcnt(3)
	v_mul_f64 v[228:229], v[116:117], v[173:174]
	s_waitcnt vmcnt(2)
	v_mul_f64 v[230:231], v[120:121], v[82:83]
	;; [unrolled: 2-line block ×4, first 2 shown]
	v_mul_f64 v[173:174], v[118:119], v[173:174]
	v_fma_f64 v[66:67], v[4:5], v[66:67], v[196:197]
	v_fma_f64 v[50:51], v[34:35], v[50:51], v[200:201]
	;; [unrolled: 1-line block ×3, first 2 shown]
	v_fma_f64 v[30:31], v[30:31], v[36:37], -v[138:139]
	v_fma_f64 v[36:37], v[80:81], v[40:41], -v[187:188]
	;; [unrolled: 1-line block ×4, first 2 shown]
	v_mul_f64 v[146:147], v[98:99], v[146:147]
	v_mul_f64 v[171:172], v[94:95], v[171:172]
	;; [unrolled: 1-line block ×5, first 2 shown]
	v_fma_f64 v[40:41], v[22:23], v[62:63], v[204:205]
	v_fma_f64 v[48:49], v[28:29], v[54:55], v[206:207]
	;; [unrolled: 1-line block ×4, first 2 shown]
	v_fma_f64 v[28:29], v[28:29], v[52:53], -v[136:137]
	v_fma_f64 v[52:53], v[26:27], v[56:57], -v[163:164]
	;; [unrolled: 1-line block ×4, first 2 shown]
	v_fma_f64 v[32:33], v[20:21], v[98:99], v[212:213]
	v_fma_f64 v[44:45], v[14:15], v[86:87], v[214:215]
	;; [unrolled: 1-line block ×4, first 2 shown]
	v_fma_f64 v[14:15], v[14:15], v[84:85], -v[167:168]
	v_fma_f64 v[60:61], v[24:25], v[88:89], -v[161:162]
	v_fma_f64 v[24:25], v[2:3], v[114:115], v[220:221]
	v_fma_f64 v[62:63], v[12:13], v[102:103], v[222:223]
	;; [unrolled: 1-line block ×4, first 2 shown]
	v_fma_f64 v[12:13], v[12:13], v[100:101], -v[165:166]
	v_fma_f64 v[10:11], v[10:11], v[104:105], -v[179:180]
	v_fma_f64 v[2:3], v[2:3], v[112:113], -v[175:176]
	v_fma_f64 v[16:17], v[16:17], v[108:109], -v[169:170]
	v_fma_f64 v[84:85], v[0:1], v[118:119], v[228:229]
	v_fma_f64 v[86:87], v[78:79], v[122:123], v[230:231]
	;; [unrolled: 1-line block ×4, first 2 shown]
	v_fma_f64 v[0:1], v[0:1], v[116:117], -v[173:174]
	v_add_f64 v[100:101], v[38:39], -v[66:67]
	v_add_f64 v[102:103], v[42:43], -v[50:51]
	v_add_f64 v[106:107], v[38:39], v[150:151]
	v_add_f64 v[108:109], v[4:5], -v[30:31]
	v_add_f64 v[110:111], v[34:35], -v[36:37]
	;; [unrolled: 1-line block ×4, first 2 shown]
	v_fma_f64 v[20:21], v[20:21], v[96:97], -v[146:147]
	v_fma_f64 v[18:19], v[18:19], v[92:93], -v[171:172]
	;; [unrolled: 1-line block ×5, first 2 shown]
	v_add_f64 v[82:83], v[66:67], -v[38:39]
	v_add_f64 v[92:93], v[50:51], -v[42:43]
	;; [unrolled: 1-line block ×3, first 2 shown]
	v_add_f64 v[96:97], v[38:39], v[42:43]
	v_add_f64 v[104:105], v[66:67], v[50:51]
	;; [unrolled: 1-line block ×3, first 2 shown]
	v_add_f64 v[114:115], v[66:67], -v[50:51]
	v_add_f64 v[120:121], v[4:5], v[34:35]
	v_add_f64 v[30:31], v[76:77], v[30:31]
	v_add_f64 v[122:123], v[40:41], -v[48:49]
	v_add_f64 v[124:125], v[46:47], -v[54:55]
	v_add_f64 v[128:129], v[48:49], v[54:55]
	v_add_f64 v[132:133], v[48:49], -v[40:41]
	v_add_f64 v[134:135], v[54:55], -v[46:47]
	v_add_f64 v[138:139], v[48:49], v[181:182]
	v_add_f64 v[146:147], v[28:29], v[52:53]
	v_add_f64 v[161:162], v[28:29], -v[22:23]
	v_add_f64 v[163:164], v[52:53], -v[26:27]
	v_add_f64 v[165:166], v[22:23], v[26:27]
	v_add_f64 v[167:168], v[32:33], -v[44:45]
	v_add_f64 v[169:170], v[56:57], -v[58:59]
	;; [unrolled: 3-line block ×3, first 2 shown]
	v_add_f64 v[234:235], v[12:13], v[10:11]
	v_add_f64 v[238:239], v[12:13], -v[2:3]
	v_add_f64 v[12:13], v[70:71], v[12:13]
	v_add_f64 v[100:101], v[100:101], v[102:103]
	;; [unrolled: 1-line block ×4, first 2 shown]
	v_add_f64 v[106:107], v[86:87], -v[84:85]
	v_add_f64 v[108:109], v[108:109], v[110:111]
	v_add_f64 v[110:111], v[90:91], -v[88:89]
	v_add_f64 v[116:117], v[116:117], v[118:119]
	v_add_f64 v[118:119], v[84:85], v[88:89]
	v_add_f64 v[98:99], v[4:5], -v[34:35]
	v_add_f64 v[126:127], v[28:29], -v[52:53]
	;; [unrolled: 1-line block ×3, first 2 shown]
	v_add_f64 v[136:137], v[40:41], v[46:47]
	v_add_f64 v[142:143], v[22:23], -v[28:29]
	v_add_f64 v[144:145], v[26:27], -v[52:53]
	;; [unrolled: 1-line block ×3, first 2 shown]
	v_add_f64 v[28:29], v[74:75], v[28:29]
	v_add_f64 v[171:172], v[14:15], -v[60:61]
	v_add_f64 v[173:174], v[44:45], v[58:59]
	v_add_f64 v[198:199], v[20:21], -v[14:15]
	;; [unrolled: 2-line block ×4, first 2 shown]
	v_add_f64 v[214:215], v[64:65], -v[80:81]
	v_add_f64 v[218:219], v[62:63], v[80:81]
	v_add_f64 v[220:221], v[2:3], -v[16:17]
	v_add_f64 v[242:243], v[2:3], v[16:17]
	v_add_f64 v[82:83], v[82:83], v[92:93]
	v_add_f64 v[92:93], v[78:79], -v[8:9]
	v_fma_f64 v[96:97], v[96:97], -0.5, v[150:151]
	v_fma_f64 v[104:105], v[104:105], -0.5, v[150:151]
	;; [unrolled: 1-line block ×4, first 2 shown]
	v_add_f64 v[120:121], v[86:87], v[189:190]
	v_add_f64 v[4:5], v[4:5], v[30:31]
	v_add_f64 v[30:31], v[0:1], -v[78:79]
	v_add_f64 v[122:123], v[122:123], v[124:125]
	v_add_f64 v[124:125], v[6:7], -v[8:9]
	v_add_f64 v[132:133], v[132:133], v[134:135]
	v_add_f64 v[134:135], v[78:79], v[8:9]
	v_fma_f64 v[128:129], v[128:129], -0.5, v[181:182]
	v_add_f64 v[40:41], v[40:41], v[138:139]
	v_add_f64 v[138:139], v[78:79], -v[0:1]
	v_add_f64 v[161:162], v[161:162], v[163:164]
	v_add_f64 v[163:164], v[0:1], v[6:7]
	;; [unrolled: 1-line block ×3, first 2 shown]
	v_fma_f64 v[146:147], v[146:147], -0.5, v[74:75]
	v_fma_f64 v[74:75], v[165:166], -0.5, v[74:75]
	v_add_f64 v[165:166], v[167:168], v[169:170]
	v_fma_f64 v[169:170], v[187:188], -0.5, v[183:184]
	v_add_f64 v[2:3], v[2:3], v[12:13]
	;; [unrolled: 2-line block ×3, first 2 shown]
	v_fma_f64 v[106:107], v[118:119], -0.5, v[189:190]
	v_add_f64 v[38:39], v[38:39], -v[42:43]
	v_add_f64 v[175:176], v[20:21], -v[18:19]
	v_add_f64 v[196:197], v[44:45], v[183:184]
	v_add_f64 v[210:211], v[20:21], v[18:19]
	v_add_f64 v[244:245], v[84:85], -v[86:87]
	v_add_f64 v[150:151], v[0:1], -v[6:7]
	v_fma_f64 v[136:137], v[136:137], -0.5, v[181:182]
	v_add_f64 v[181:182], v[84:85], -v[88:89]
	v_add_f64 v[142:143], v[142:143], v[144:145]
	v_add_f64 v[144:145], v[8:9], -v[6:7]
	v_add_f64 v[22:23], v[22:23], v[28:29]
	v_fma_f64 v[28:29], v[173:174], -0.5, v[183:184]
	v_add_f64 v[14:15], v[20:21], v[14:15]
	v_add_f64 v[183:184], v[212:213], v[214:215]
	v_fma_f64 v[20:21], v[218:219], -0.5, v[185:186]
	v_add_f64 v[84:85], v[84:85], v[120:121]
	v_add_f64 v[110:111], v[30:31], v[124:125]
	v_fma_f64 v[30:31], v[134:135], -0.5, v[68:69]
	v_fma_f64 v[68:69], v[163:164], -0.5, v[68:69]
	v_add_f64 v[0:1], v[0:1], v[78:79]
	v_fma_f64 v[78:79], v[98:99], s[8:9], v[96:97]
	v_fma_f64 v[96:97], v[98:99], s[10:11], v[96:97]
	v_fma_f64 v[120:121], v[94:95], s[10:11], v[104:105]
	v_fma_f64 v[104:105], v[94:95], s[8:9], v[104:105]
	v_add_f64 v[50:51], v[50:51], v[66:67]
	v_fma_f64 v[66:67], v[114:115], s[10:11], v[112:113]
	v_fma_f64 v[112:113], v[114:115], s[8:9], v[112:113]
	v_add_f64 v[4:5], v[4:5], v[34:35]
	v_fma_f64 v[34:35], v[130:131], s[8:9], v[128:129]
	v_fma_f64 v[128:129], v[130:131], s[10:11], v[128:129]
	v_fma_f64 v[163:164], v[171:172], s[10:11], v[169:170]
	v_fma_f64 v[169:170], v[171:172], s[8:9], v[169:170]
	v_fma_f64 v[214:215], v[92:93], s[10:11], v[106:107]
	v_fma_f64 v[106:107], v[92:93], s[8:9], v[106:107]
	v_add_f64 v[200:201], v[18:19], -v[60:61]
	v_add_f64 v[208:209], v[60:61], -v[18:19]
	;; [unrolled: 1-line block ×4, first 2 shown]
	v_add_f64 v[118:119], v[138:139], v[144:145]
	v_fma_f64 v[124:125], v[38:39], s[8:9], v[76:77]
	v_fma_f64 v[134:135], v[126:127], s[10:11], v[136:137]
	;; [unrolled: 1-line block ×3, first 2 shown]
	v_add_f64 v[40:41], v[46:47], v[40:41]
	v_fma_f64 v[46:47], v[148:149], s[10:11], v[146:147]
	v_fma_f64 v[138:139], v[148:149], s[8:9], v[146:147]
	;; [unrolled: 1-line block ×4, first 2 shown]
	v_add_f64 v[14:15], v[14:15], v[18:19]
	v_fma_f64 v[18:19], v[220:221], s[8:9], v[20:21]
	v_add_f64 v[16:17], v[2:3], v[16:17]
	v_add_f64 v[6:7], v[0:1], v[6:7]
	v_fma_f64 v[78:79], v[94:95], s[4:5], v[78:79]
	v_fma_f64 v[94:95], v[94:95], s[6:7], v[96:97]
	;; [unrolled: 1-line block ×4, first 2 shown]
	v_add_f64 v[2:3], v[42:43], v[50:51]
	v_fma_f64 v[42:43], v[38:39], s[6:7], v[66:67]
	v_fma_f64 v[50:51], v[38:39], s[4:5], v[112:113]
	;; [unrolled: 1-line block ×9, first 2 shown]
	v_add_f64 v[0:1], v[4:5], v[36:37]
	v_fma_f64 v[120:121], v[130:131], s[6:7], v[136:137]
	v_add_f64 v[177:178], v[44:45], -v[32:33]
	v_fma_f64 v[124:125], v[171:172], s[6:7], v[28:29]
	v_add_f64 v[28:29], v[14:15], v[60:61]
	v_fma_f64 v[136:137], v[216:217], s[4:5], v[18:19]
	v_add_f64 v[179:180], v[58:59], -v[56:57]
	v_add_f64 v[36:37], v[6:7], v[8:9]
	v_add_f64 v[204:205], v[32:33], -v[56:57]
	v_fma_f64 v[14:15], v[82:83], s[0:1], v[94:95]
	v_add_f64 v[222:223], v[62:63], -v[24:25]
	v_fma_f64 v[18:19], v[100:101], s[0:1], v[98:99]
	v_add_f64 v[224:225], v[80:81], -v[64:65]
	v_fma_f64 v[8:9], v[108:109], s[0:1], v[42:43]
	v_add_f64 v[86:87], v[86:87], -v[90:91]
	v_fma_f64 v[42:43], v[122:123], s[0:1], v[104:105]
	v_add_f64 v[32:33], v[32:33], v[196:197]
	v_add_f64 v[228:229], v[62:63], v[185:186]
	v_fma_f64 v[76:77], v[38:39], s[10:11], v[76:77]
	v_fma_f64 v[94:95], v[102:103], s[0:1], v[175:176]
	;; [unrolled: 1-line block ×3, first 2 shown]
	s_clause 0x1
	buffer_load_dword v103, off, s[28:31], 0
	buffer_load_dword v104, off, s[28:31], 0 offset:4
	v_add_f64 v[44:45], v[44:45], -v[58:59]
	v_add_f64 v[246:247], v[88:89], -v[90:91]
	v_add_f64 v[84:85], v[88:89], v[84:85]
	v_fma_f64 v[88:89], v[181:182], s[10:11], v[30:31]
	v_fma_f64 v[218:219], v[181:182], s[8:9], v[30:31]
	v_add_f64 v[226:227], v[24:25], v[64:65]
	v_add_f64 v[167:168], v[177:178], v[179:180]
	v_fma_f64 v[177:178], v[202:203], -0.5, v[72:73]
	v_add_f64 v[236:237], v[24:25], -v[64:65]
	v_add_f64 v[22:23], v[22:23], v[26:27]
	v_fma_f64 v[212:213], v[150:151], s[8:9], v[12:13]
	v_fma_f64 v[12:13], v[150:151], s[10:11], v[12:13]
	v_add_f64 v[187:188], v[222:223], v[224:225]
	v_add_f64 v[48:49], v[48:49], -v[54:55]
	v_fma_f64 v[222:223], v[86:87], s[8:9], v[68:69]
	v_fma_f64 v[68:69], v[86:87], s[10:11], v[68:69]
	v_add_f64 v[32:33], v[56:57], v[32:33]
	v_add_f64 v[24:25], v[24:25], v[228:229]
	v_fma_f64 v[76:77], v[114:115], s[4:5], v[76:77]
	v_fma_f64 v[114:115], v[130:131], s[4:5], v[134:135]
	v_add_f64 v[62:63], v[62:63], -v[80:81]
	v_add_f64 v[173:174], v[198:199], v[200:201]
	v_fma_f64 v[198:199], v[234:235], -0.5, v[70:71]
	v_fma_f64 v[70:71], v[242:243], -0.5, v[70:71]
	v_add_f64 v[38:39], v[90:91], v[84:85]
	v_fma_f64 v[84:85], v[86:87], s[6:7], v[88:89]
	v_fma_f64 v[88:89], v[86:87], s[4:5], v[218:219]
	v_fma_f64 v[185:186], v[226:227], -0.5, v[185:186]
	v_fma_f64 v[6:7], v[100:101], s[0:1], v[96:97]
	v_fma_f64 v[56:57], v[204:205], s[10:11], v[177:178]
	;; [unrolled: 1-line block ×3, first 2 shown]
	v_mad_u64_u32 v[100:101], null, s3, v159, v[194:195]
	v_add_f64 v[26:27], v[54:55], v[40:41]
	v_add_f64 v[202:203], v[244:245], v[246:247]
	v_fma_f64 v[40:41], v[48:49], s[6:7], v[46:47]
	v_fma_f64 v[46:47], v[122:123], s[0:1], v[112:113]
	v_fma_f64 v[150:151], v[181:182], s[6:7], v[222:223]
	v_add_f64 v[179:180], v[206:207], v[208:209]
	v_add_f64 v[64:65], v[64:65], v[24:25]
	v_add_f64 v[24:25], v[22:23], v[52:53]
	v_fma_f64 v[52:53], v[171:172], s[4:5], v[146:147]
	v_fma_f64 v[171:172], v[92:93], s[4:5], v[212:213]
	;; [unrolled: 1-line block ×4, first 2 shown]
	v_add_nc_u32_e32 v109, 0x276, v153
	v_fma_f64 v[22:23], v[132:133], s[0:1], v[114:115]
	v_add_nc_u32_e32 v114, 0x3b1, v153
	v_mov_b32_e32 v194, v100
	v_add_nc_u32_e32 v115, 0x4ec, v153
	v_mad_u64_u32 v[101:102], null, s2, v109, 0
	v_fma_f64 v[130:131], v[44:45], s[4:5], v[177:178]
	v_fma_f64 v[177:178], v[181:182], s[4:5], v[68:69]
	v_mad_u64_u32 v[105:106], null, s2, v114, 0
	v_fma_f64 v[84:85], v[110:111], s[0:1], v[84:85]
	v_fma_f64 v[88:89], v[110:111], s[0:1], v[88:89]
	v_mov_b32_e32 v100, v102
	v_lshlrev_b64 v[107:108], 4, v[193:194]
	v_fma_f64 v[72:73], v[210:211], -0.5, v[72:73]
	v_fma_f64 v[206:207], v[216:217], s[10:11], v[185:186]
	v_fma_f64 v[185:186], v[216:217], s[8:9], v[185:186]
	v_mad_u64_u32 v[109:110], null, s3, v109, v[100:101]
	v_mad_u64_u32 v[110:111], null, s2, v115, 0
	v_fma_f64 v[208:209], v[236:237], s[10:11], v[198:199]
	v_fma_f64 v[210:211], v[62:63], s[8:9], v[70:71]
	v_fma_f64 v[70:71], v[62:63], s[10:11], v[70:71]
	v_mov_b32_e32 v100, v106
	v_mov_b32_e32 v102, v109
	v_fma_f64 v[40:41], v[142:143], s[0:1], v[40:41]
	v_fma_f64 v[90:91], v[202:203], s[0:1], v[92:93]
	;; [unrolled: 1-line block ×5, first 2 shown]
	v_add_f64 v[196:197], v[230:231], v[232:233]
	v_add_f64 v[200:201], v[238:239], v[240:241]
	;; [unrolled: 1-line block ×3, first 2 shown]
	v_fma_f64 v[144:145], v[48:49], s[8:9], v[74:75]
	v_fma_f64 v[74:75], v[48:49], s[10:11], v[74:75]
	;; [unrolled: 1-line block ×7, first 2 shown]
	v_add_f64 v[30:31], v[58:59], v[32:33]
	v_add_f64 v[32:33], v[16:17], v[10:11]
	v_fma_f64 v[80:81], v[62:63], s[6:7], v[208:209]
	v_fma_f64 v[10:11], v[82:83], s[0:1], v[78:79]
	;; [unrolled: 1-line block ×35, first 2 shown]
	s_waitcnt vmcnt(1)
	v_add_co_u32 v112, vcc_lo, s12, v103
	s_waitcnt vmcnt(0)
	v_add_co_ci_u32_e32 v113, vcc_lo, s13, v104, vcc_lo
	v_lshlrev_b64 v[103:104], 4, v[191:192]
	v_add_co_u32 v103, vcc_lo, v112, v103
	v_add_co_ci_u32_e32 v104, vcc_lo, v113, v104, vcc_lo
	v_add_co_u32 v106, vcc_lo, v112, v107
	v_add_co_ci_u32_e32 v107, vcc_lo, v113, v108, vcc_lo
	v_mad_u64_u32 v[108:109], null, s3, v114, v[100:101]
	v_mov_b32_e32 v100, v111
	global_store_dwordx4 v[103:104], v[36:39], off
	global_store_dwordx4 v[106:107], v[96:99], off
	v_mad_u64_u32 v[96:97], null, s2, v158, 0
	v_lshlrev_b64 v[36:37], 4, v[101:102]
	v_mad_u64_u32 v[38:39], null, s3, v115, v[100:101]
	v_mov_b32_e32 v106, v108
	v_add_co_u32 v36, vcc_lo, v112, v36
	v_lshlrev_b64 v[98:99], 4, v[105:106]
	v_mov_b32_e32 v111, v38
	v_mov_b32_e32 v38, v97
	v_add_nc_u32_e32 v97, 0x17a, v153
	v_add_co_ci_u32_e32 v37, vcc_lo, v113, v37, vcc_lo
	v_lshlrev_b64 v[102:103], 4, v[110:111]
	v_mad_u64_u32 v[38:39], null, s3, v158, v[38:39]
	v_mad_u64_u32 v[100:101], null, s2, v97, 0
	v_add_co_u32 v98, vcc_lo, v112, v98
	v_add_nc_u32_e32 v106, 0x2b5, v153
	v_add_co_ci_u32_e32 v99, vcc_lo, v113, v99, vcc_lo
	v_mov_b32_e32 v39, v101
	v_add_co_u32 v101, vcc_lo, v112, v102
	v_add_co_ci_u32_e32 v102, vcc_lo, v113, v103, vcc_lo
	v_mad_u64_u32 v[103:104], null, s3, v97, v[39:40]
	v_mad_u64_u32 v[104:105], null, s2, v106, 0
	global_store_dwordx4 v[36:37], v[88:91], off
	global_store_dwordx4 v[98:99], v[84:87], off
	;; [unrolled: 1-line block ×3, first 2 shown]
	v_add_nc_u32_e32 v90, 0x3f0, v153
	v_mov_b32_e32 v97, v38
	v_add_nc_u32_e32 v91, 0x52b, v153
	v_mov_b32_e32 v101, v103
	v_mov_b32_e32 v38, v105
	v_mad_u64_u32 v[84:85], null, s2, v90, 0
	v_lshlrev_b64 v[36:37], 4, v[96:97]
	v_mad_u64_u32 v[88:89], null, s2, v91, 0
	v_mad_u64_u32 v[38:39], null, s3, v106, v[38:39]
	v_lshlrev_b64 v[86:87], 4, v[100:101]
	v_mov_b32_e32 v39, v85
	v_add_co_u32 v36, vcc_lo, v112, v36
	v_add_co_ci_u32_e32 v37, vcc_lo, v113, v37, vcc_lo
	v_add_co_u32 v85, vcc_lo, v112, v86
	v_mov_b32_e32 v105, v38
	v_mad_u64_u32 v[38:39], null, s3, v90, v[39:40]
	v_mov_b32_e32 v39, v89
	v_add_co_ci_u32_e32 v86, vcc_lo, v113, v87, vcc_lo
	global_store_dwordx4 v[36:37], v[32:35], off
	global_store_dwordx4 v[85:86], v[80:83], off
	v_mad_u64_u32 v[34:35], null, s3, v91, v[39:40]
	v_add_nc_u32_e32 v39, 0x7e, v153
	v_mov_b32_e32 v85, v38
	v_lshlrev_b64 v[32:33], 4, v[104:105]
	v_mad_u64_u32 v[35:36], null, s2, v39, 0
	v_mov_b32_e32 v89, v34
	v_lshlrev_b64 v[37:38], 4, v[84:85]
	v_add_co_u32 v32, vcc_lo, v112, v32
	v_add_co_ci_u32_e32 v33, vcc_lo, v113, v33, vcc_lo
	v_mov_b32_e32 v34, v36
	v_add_nc_u32_e32 v36, 0x1b9, v153
	v_lshlrev_b64 v[82:83], 4, v[88:89]
	v_add_co_u32 v37, vcc_lo, v112, v37
	v_mad_u64_u32 v[84:85], null, s3, v39, v[34:35]
	v_mad_u64_u32 v[80:81], null, s2, v36, 0
	v_add_co_ci_u32_e32 v38, vcc_lo, v113, v38, vcc_lo
	v_add_nc_u32_e32 v39, 0x2f4, v153
	v_mov_b32_e32 v34, v81
	v_add_co_u32 v81, vcc_lo, v112, v82
	v_add_co_ci_u32_e32 v82, vcc_lo, v113, v83, vcc_lo
	v_mad_u64_u32 v[85:86], null, s3, v36, v[34:35]
	v_mad_u64_u32 v[86:87], null, s2, v39, 0
	v_mov_b32_e32 v36, v84
	global_store_dwordx4 v[32:33], v[72:75], off
	global_store_dwordx4 v[37:38], v[68:71], off
	;; [unrolled: 1-line block ×3, first 2 shown]
	v_add_nc_u32_e32 v71, 0x42f, v153
	v_add_nc_u32_e32 v72, 0x56a, v153
	v_mov_b32_e32 v81, v85
	v_lshlrev_b64 v[32:33], 4, v[35:36]
	v_mov_b32_e32 v34, v87
	v_mad_u64_u32 v[35:36], null, s2, v71, 0
	v_lshlrev_b64 v[37:38], 4, v[80:81]
	v_add_co_u32 v32, vcc_lo, v112, v32
	v_add_co_ci_u32_e32 v33, vcc_lo, v113, v33, vcc_lo
	v_mad_u64_u32 v[68:69], null, s3, v39, v[34:35]
	v_mad_u64_u32 v[69:70], null, s2, v72, 0
	v_mov_b32_e32 v34, v36
	v_add_co_u32 v36, vcc_lo, v112, v37
	v_add_co_ci_u32_e32 v37, vcc_lo, v113, v38, vcc_lo
	v_mad_u64_u32 v[38:39], null, s3, v71, v[34:35]
	v_mov_b32_e32 v34, v70
	v_mov_b32_e32 v87, v68
	global_store_dwordx4 v[32:33], v[28:31], off
	global_store_dwordx4 v[36:37], v[64:67], off
	v_add_nc_u32_e32 v39, 0xbd, v153
	v_mad_u64_u32 v[30:31], null, s3, v72, v[34:35]
	v_mov_b32_e32 v36, v38
	v_lshlrev_b64 v[28:29], 4, v[86:87]
	v_mad_u64_u32 v[31:32], null, s2, v39, 0
	v_lshlrev_b64 v[33:34], 4, v[35:36]
	v_mov_b32_e32 v70, v30
	v_add_co_u32 v28, vcc_lo, v112, v28
	v_mad_u64_u32 v[35:36], null, s2, v160, 0
	v_add_co_ci_u32_e32 v29, vcc_lo, v113, v29, vcc_lo
	v_mov_b32_e32 v30, v32
	v_add_co_u32 v32, vcc_lo, v112, v33
	v_lshlrev_b64 v[37:38], 4, v[69:70]
	v_add_co_ci_u32_e32 v33, vcc_lo, v113, v34, vcc_lo
	global_store_dwordx4 v[28:29], v[56:59], off
	global_store_dwordx4 v[32:33], v[52:55], off
	v_mov_b32_e32 v28, v36
	v_add_co_u32 v29, vcc_lo, v112, v37
	v_mad_u64_u32 v[64:65], null, s3, v39, v[30:31]
	v_add_co_ci_u32_e32 v30, vcc_lo, v113, v38, vcc_lo
	v_mad_u64_u32 v[33:34], null, s3, v160, v[28:29]
	v_add_nc_u32_e32 v39, 0x333, v153
	v_add_nc_u32_e32 v52, 0x46e, v153
	v_mov_b32_e32 v32, v64
	global_store_dwordx4 v[29:30], v[60:63], off
	v_mul_hi_u32 v54, 0xa01a01a1, v152
	v_add_nc_u32_e32 v55, 0x5a9, v153
	v_mov_b32_e32 v36, v33
	v_lshlrev_b64 v[28:29], 4, v[31:32]
	v_mad_u64_u32 v[30:31], null, s2, v39, 0
	v_mad_u64_u32 v[37:38], null, s2, v52, 0
	v_lshlrev_b64 v[32:33], 4, v[35:36]
	v_add_co_u32 v28, vcc_lo, v112, v28
	v_add_co_ci_u32_e32 v29, vcc_lo, v113, v29, vcc_lo
	v_mad_u64_u32 v[35:36], null, s3, v39, v[31:32]
	v_mov_b32_e32 v34, v38
	v_sub_nc_u32_e32 v31, v152, v54
	v_add_co_u32 v32, vcc_lo, v112, v32
	v_add_co_ci_u32_e32 v33, vcc_lo, v113, v33, vcc_lo
	v_mad_u64_u32 v[38:39], null, s3, v52, v[34:35]
	v_mad_u64_u32 v[52:53], null, s2, v55, 0
	global_store_dwordx4 v[28:29], v[24:27], off
	v_lshrrev_b32_e32 v25, 1, v31
	v_mov_b32_e32 v31, v35
	global_store_dwordx4 v[32:33], v[48:51], off
	v_lshlrev_b64 v[27:28], 4, v[37:38]
	v_add_nc_u32_e32 v32, v25, v54
	v_lshlrev_b64 v[25:26], 4, v[30:31]
	v_mov_b32_e32 v24, v53
	v_mad_u64_u32 v[29:30], null, s3, v55, v[24:25]
	v_lshrrev_b32_e32 v30, 8, v32
	v_add_co_u32 v24, vcc_lo, v112, v25
	v_add_co_ci_u32_e32 v25, vcc_lo, v113, v26, vcc_lo
	v_mad_u32_u24 v36, 0x4ec, v30, v152
	v_add_co_u32 v26, vcc_lo, v112, v27
	v_add_co_ci_u32_e32 v27, vcc_lo, v113, v28, vcc_lo
	v_add_nc_u32_e32 v37, 0x276, v36
	v_mov_b32_e32 v53, v29
	v_mad_u64_u32 v[28:29], null, s2, v36, 0
	v_add_nc_u32_e32 v34, 0x13b, v36
	v_mad_u64_u32 v[30:31], null, s2, v37, 0
	global_store_dwordx4 v[24:25], v[44:47], off
	global_store_dwordx4 v[26:27], v[40:43], off
	v_mad_u64_u32 v[26:27], null, s2, v34, 0
	v_lshlrev_b64 v[24:25], 4, v[52:53]
	v_add_nc_u32_e32 v39, 0x3b1, v36
	v_mad_u64_u32 v[32:33], null, s3, v36, v[29:30]
	v_add_nc_u32_e32 v40, 0x4ec, v36
	v_mad_u64_u32 v[33:34], null, s3, v34, v[27:28]
	v_mov_b32_e32 v27, v31
	v_add_co_u32 v24, vcc_lo, v112, v24
	v_mad_u64_u32 v[34:35], null, s2, v39, 0
	v_add_co_ci_u32_e32 v25, vcc_lo, v113, v25, vcc_lo
	v_mov_b32_e32 v29, v32
	v_mad_u64_u32 v[36:37], null, s3, v37, v[27:28]
	v_mad_u64_u32 v[37:38], null, s2, v40, 0
	global_store_dwordx4 v[24:25], v[20:23], off
	v_lshlrev_b64 v[21:22], 4, v[28:29]
	v_mov_b32_e32 v20, v35
	v_mov_b32_e32 v27, v33
	;; [unrolled: 1-line block ×3, first 2 shown]
	v_mad_u64_u32 v[23:24], null, s3, v39, v[20:21]
	v_mov_b32_e32 v20, v38
	v_add_co_u32 v21, vcc_lo, v112, v21
	v_lshlrev_b64 v[24:25], 4, v[26:27]
	v_add_co_ci_u32_e32 v22, vcc_lo, v113, v22, vcc_lo
	v_mad_u64_u32 v[26:27], null, s3, v40, v[20:21]
	v_lshlrev_b64 v[27:28], 4, v[30:31]
	v_mov_b32_e32 v35, v23
	v_add_co_u32 v23, vcc_lo, v112, v24
	v_add_co_ci_u32_e32 v24, vcc_lo, v113, v25, vcc_lo
	v_mov_b32_e32 v38, v26
	v_lshlrev_b64 v[29:30], 4, v[34:35]
	v_add_co_u32 v25, vcc_lo, v112, v27
	v_add_co_ci_u32_e32 v26, vcc_lo, v113, v28, vcc_lo
	v_lshlrev_b64 v[27:28], 4, v[37:38]
	v_add_co_u32 v29, vcc_lo, v112, v29
	v_add_co_ci_u32_e32 v30, vcc_lo, v113, v30, vcc_lo
	v_add_co_u32 v27, vcc_lo, v112, v27
	v_add_co_ci_u32_e32 v28, vcc_lo, v113, v28, vcc_lo
	global_store_dwordx4 v[21:22], v[0:3], off
	global_store_dwordx4 v[23:24], v[16:19], off
	;; [unrolled: 1-line block ×5, first 2 shown]
.LBB0_37:
	s_endpgm
	.section	.rodata,"a",@progbits
	.p2align	6, 0x0
	.amdhsa_kernel fft_rtc_fwd_len1575_factors_3_3_5_7_5_wgs_63_tpt_63_halfLds_dp_ip_CI_sbrr_dirReg
		.amdhsa_group_segment_fixed_size 0
		.amdhsa_private_segment_fixed_size 12
		.amdhsa_kernarg_size 88
		.amdhsa_user_sgpr_count 6
		.amdhsa_user_sgpr_private_segment_buffer 1
		.amdhsa_user_sgpr_dispatch_ptr 0
		.amdhsa_user_sgpr_queue_ptr 0
		.amdhsa_user_sgpr_kernarg_segment_ptr 1
		.amdhsa_user_sgpr_dispatch_id 0
		.amdhsa_user_sgpr_flat_scratch_init 0
		.amdhsa_user_sgpr_private_segment_size 0
		.amdhsa_wavefront_size32 1
		.amdhsa_uses_dynamic_stack 0
		.amdhsa_system_sgpr_private_segment_wavefront_offset 1
		.amdhsa_system_sgpr_workgroup_id_x 1
		.amdhsa_system_sgpr_workgroup_id_y 0
		.amdhsa_system_sgpr_workgroup_id_z 0
		.amdhsa_system_sgpr_workgroup_info 0
		.amdhsa_system_vgpr_workitem_id 0
		.amdhsa_next_free_vgpr 256
		.amdhsa_next_free_sgpr 32
		.amdhsa_reserve_vcc 1
		.amdhsa_reserve_flat_scratch 0
		.amdhsa_float_round_mode_32 0
		.amdhsa_float_round_mode_16_64 0
		.amdhsa_float_denorm_mode_32 3
		.amdhsa_float_denorm_mode_16_64 3
		.amdhsa_dx10_clamp 1
		.amdhsa_ieee_mode 1
		.amdhsa_fp16_overflow 0
		.amdhsa_workgroup_processor_mode 1
		.amdhsa_memory_ordered 1
		.amdhsa_forward_progress 0
		.amdhsa_shared_vgpr_count 0
		.amdhsa_exception_fp_ieee_invalid_op 0
		.amdhsa_exception_fp_denorm_src 0
		.amdhsa_exception_fp_ieee_div_zero 0
		.amdhsa_exception_fp_ieee_overflow 0
		.amdhsa_exception_fp_ieee_underflow 0
		.amdhsa_exception_fp_ieee_inexact 0
		.amdhsa_exception_int_div_zero 0
	.end_amdhsa_kernel
	.text
.Lfunc_end0:
	.size	fft_rtc_fwd_len1575_factors_3_3_5_7_5_wgs_63_tpt_63_halfLds_dp_ip_CI_sbrr_dirReg, .Lfunc_end0-fft_rtc_fwd_len1575_factors_3_3_5_7_5_wgs_63_tpt_63_halfLds_dp_ip_CI_sbrr_dirReg
                                        ; -- End function
	.section	.AMDGPU.csdata,"",@progbits
; Kernel info:
; codeLenInByte = 22488
; NumSgprs: 34
; NumVgprs: 256
; ScratchSize: 12
; MemoryBound: 1
; FloatMode: 240
; IeeeMode: 1
; LDSByteSize: 0 bytes/workgroup (compile time only)
; SGPRBlocks: 4
; VGPRBlocks: 31
; NumSGPRsForWavesPerEU: 34
; NumVGPRsForWavesPerEU: 256
; Occupancy: 4
; WaveLimiterHint : 1
; COMPUTE_PGM_RSRC2:SCRATCH_EN: 1
; COMPUTE_PGM_RSRC2:USER_SGPR: 6
; COMPUTE_PGM_RSRC2:TRAP_HANDLER: 0
; COMPUTE_PGM_RSRC2:TGID_X_EN: 1
; COMPUTE_PGM_RSRC2:TGID_Y_EN: 0
; COMPUTE_PGM_RSRC2:TGID_Z_EN: 0
; COMPUTE_PGM_RSRC2:TIDIG_COMP_CNT: 0
	.text
	.p2alignl 6, 3214868480
	.fill 48, 4, 3214868480
	.type	__hip_cuid_e1ee2c66557ae5f8,@object ; @__hip_cuid_e1ee2c66557ae5f8
	.section	.bss,"aw",@nobits
	.globl	__hip_cuid_e1ee2c66557ae5f8
__hip_cuid_e1ee2c66557ae5f8:
	.byte	0                               ; 0x0
	.size	__hip_cuid_e1ee2c66557ae5f8, 1

	.ident	"AMD clang version 19.0.0git (https://github.com/RadeonOpenCompute/llvm-project roc-6.4.0 25133 c7fe45cf4b819c5991fe208aaa96edf142730f1d)"
	.section	".note.GNU-stack","",@progbits
	.addrsig
	.addrsig_sym __hip_cuid_e1ee2c66557ae5f8
	.amdgpu_metadata
---
amdhsa.kernels:
  - .args:
      - .actual_access:  read_only
        .address_space:  global
        .offset:         0
        .size:           8
        .value_kind:     global_buffer
      - .offset:         8
        .size:           8
        .value_kind:     by_value
      - .actual_access:  read_only
        .address_space:  global
        .offset:         16
        .size:           8
        .value_kind:     global_buffer
      - .actual_access:  read_only
        .address_space:  global
        .offset:         24
        .size:           8
        .value_kind:     global_buffer
      - .offset:         32
        .size:           8
        .value_kind:     by_value
      - .actual_access:  read_only
        .address_space:  global
        .offset:         40
        .size:           8
        .value_kind:     global_buffer
      - .actual_access:  read_only
        .address_space:  global
        .offset:         48
        .size:           8
        .value_kind:     global_buffer
      - .offset:         56
        .size:           4
        .value_kind:     by_value
      - .actual_access:  read_only
        .address_space:  global
        .offset:         64
        .size:           8
        .value_kind:     global_buffer
      - .actual_access:  read_only
        .address_space:  global
        .offset:         72
        .size:           8
        .value_kind:     global_buffer
      - .address_space:  global
        .offset:         80
        .size:           8
        .value_kind:     global_buffer
    .group_segment_fixed_size: 0
    .kernarg_segment_align: 8
    .kernarg_segment_size: 88
    .language:       OpenCL C
    .language_version:
      - 2
      - 0
    .max_flat_workgroup_size: 63
    .name:           fft_rtc_fwd_len1575_factors_3_3_5_7_5_wgs_63_tpt_63_halfLds_dp_ip_CI_sbrr_dirReg
    .private_segment_fixed_size: 12
    .sgpr_count:     34
    .sgpr_spill_count: 0
    .symbol:         fft_rtc_fwd_len1575_factors_3_3_5_7_5_wgs_63_tpt_63_halfLds_dp_ip_CI_sbrr_dirReg.kd
    .uniform_work_group_size: 1
    .uses_dynamic_stack: false
    .vgpr_count:     256
    .vgpr_spill_count: 2
    .wavefront_size: 32
    .workgroup_processor_mode: 1
amdhsa.target:   amdgcn-amd-amdhsa--gfx1030
amdhsa.version:
  - 1
  - 2
...

	.end_amdgpu_metadata
